;; amdgpu-corpus repo=ROCm/rocFFT kind=compiled arch=gfx906 opt=O3
	.text
	.amdgcn_target "amdgcn-amd-amdhsa--gfx906"
	.amdhsa_code_object_version 6
	.protected	bluestein_single_fwd_len1152_dim1_half_op_CI_CI ; -- Begin function bluestein_single_fwd_len1152_dim1_half_op_CI_CI
	.globl	bluestein_single_fwd_len1152_dim1_half_op_CI_CI
	.p2align	8
	.type	bluestein_single_fwd_len1152_dim1_half_op_CI_CI,@function
bluestein_single_fwd_len1152_dim1_half_op_CI_CI: ; @bluestein_single_fwd_len1152_dim1_half_op_CI_CI
; %bb.0:
	s_load_dwordx4 s[16:19], s[4:5], 0x28
	v_mul_u32_u24_e32 v1, 0x1c8, v0
	v_add_u32_sdwa v17, s6, v1 dst_sel:DWORD dst_unused:UNUSED_PAD src0_sel:DWORD src1_sel:WORD_1
	v_mov_b32_e32 v18, 0
	s_waitcnt lgkmcnt(0)
	v_cmp_gt_u64_e32 vcc, s[16:17], v[17:18]
	s_and_saveexec_b64 s[0:1], vcc
	s_cbranch_execz .LBB0_18
; %bb.1:
	s_load_dwordx4 s[0:3], s[4:5], 0x18
	s_load_dwordx4 s[12:15], s[4:5], 0x0
	s_nop 0
	s_load_dwordx2 s[4:5], s[4:5], 0x38
	s_waitcnt lgkmcnt(0)
	s_load_dwordx4 s[8:11], s[0:1], 0x0
	s_movk_i32 s0, 0x90
	v_mul_lo_u16_sdwa v1, v1, s0 dst_sel:DWORD dst_unused:UNUSED_PAD src0_sel:WORD_1 src1_sel:DWORD
	v_sub_u16_e32 v38, v0, v1
	v_lshlrev_b32_e32 v41, 2, v38
	s_waitcnt lgkmcnt(0)
	v_mad_u64_u32 v[0:1], s[6:7], s10, v17, 0
	v_mad_u64_u32 v[2:3], s[6:7], s8, v38, 0
	s_mul_i32 s1, s9, 0x480
	s_mul_i32 s10, s8, 0x480
	v_mad_u64_u32 v[4:5], s[6:7], s11, v17, v[1:2]
	global_load_dword v40, v41, s[12:13]
	v_mad_u64_u32 v[5:6], s[6:7], s9, v38, v[3:4]
	v_mov_b32_e32 v1, v4
	v_lshlrev_b64 v[0:1], 2, v[0:1]
	v_mov_b32_e32 v6, s19
	v_mov_b32_e32 v3, v5
	v_add_co_u32_e32 v4, vcc, s18, v0
	v_addc_co_u32_e32 v5, vcc, v6, v1, vcc
	v_lshlrev_b64 v[0:1], 2, v[2:3]
	s_mul_hi_u32 s6, s8, 0x480
	v_add_co_u32_e32 v0, vcc, v4, v0
	v_addc_co_u32_e32 v1, vcc, v5, v1, vcc
	s_add_i32 s1, s6, s1
	v_mov_b32_e32 v3, s1
	v_add_co_u32_e32 v2, vcc, s10, v0
	v_addc_co_u32_e32 v3, vcc, v1, v3, vcc
	global_load_dword v4, v[0:1], off
	global_load_dword v5, v[2:3], off
	global_load_dword v37, v41, s[12:13] offset:1152
	v_mov_b32_e32 v1, s1
	v_add_co_u32_e32 v0, vcc, s10, v2
	v_addc_co_u32_e32 v1, vcc, v3, v1, vcc
	v_mov_b32_e32 v6, s1
	global_load_dword v2, v[0:1], off
	global_load_dword v36, v41, s[12:13] offset:3456
	global_load_dword v39, v41, s[12:13] offset:2304
	v_add_co_u32_e32 v0, vcc, s10, v0
	v_addc_co_u32_e32 v1, vcc, v1, v6, vcc
	v_mov_b32_e32 v6, 0xfffff4c0
	global_load_dword v3, v[0:1], off
	v_mad_u64_u32 v[0:1], s[6:7], s8, v6, v[0:1]
	s_mul_i32 s6, s9, 0xfffff4c0
	s_sub_i32 s6, s6, s8
	v_add_u32_e32 v1, s6, v1
	global_load_dword v34, v41, s[12:13] offset:1728
	global_load_dword v6, v[0:1], off
	global_load_dword v35, v41, s[12:13] offset:576
	v_mov_b32_e32 v7, s1
	v_add_co_u32_e32 v0, vcc, s10, v0
	v_addc_co_u32_e32 v1, vcc, v1, v7, vcc
	global_load_dword v7, v[0:1], off
	v_mov_b32_e32 v8, s1
	v_add_co_u32_e32 v0, vcc, s10, v0
	v_addc_co_u32_e32 v1, vcc, v1, v8, vcc
	global_load_dword v8, v[0:1], off
	global_load_dword v33, v41, s[12:13] offset:2880
	v_mov_b32_e32 v9, s1
	v_add_co_u32_e32 v0, vcc, s10, v0
	v_addc_co_u32_e32 v1, vcc, v1, v9, vcc
	global_load_dword v9, v[0:1], off
	global_load_dword v32, v41, s[12:13] offset:4032
	s_load_dwordx4 s[8:11], s[2:3], 0x0
	v_add_co_u32_e32 v15, vcc, s0, v38
	v_lshlrev_b32_e32 v28, 4, v15
	s_movk_i32 s0, 0x60
	v_cmp_gt_u16_e64 s[0:1], s0, v38
	s_waitcnt vmcnt(14)
	v_lshrrev_b32_e32 v0, 16, v4
	v_mul_f16_sdwa v1, v40, v4 dst_sel:DWORD dst_unused:UNUSED_PAD src0_sel:WORD_1 src1_sel:DWORD
	v_fma_f16 v1, v40, v0, -v1
	v_mul_f16_sdwa v0, v40, v0 dst_sel:DWORD dst_unused:UNUSED_PAD src0_sel:WORD_1 src1_sel:DWORD
	s_waitcnt vmcnt(13)
	v_lshrrev_b32_e32 v10, 16, v5
	s_waitcnt vmcnt(12)
	v_mul_f16_sdwa v11, v37, v5 dst_sel:DWORD dst_unused:UNUSED_PAD src0_sel:WORD_1 src1_sel:DWORD
	v_fma_f16 v0, v40, v4, v0
	v_fma_f16 v4, v37, v10, -v11
	v_mul_f16_sdwa v10, v37, v10 dst_sel:DWORD dst_unused:UNUSED_PAD src0_sel:WORD_1 src1_sel:DWORD
	s_waitcnt vmcnt(11)
	v_lshrrev_b32_e32 v11, 16, v2
	s_waitcnt vmcnt(9)
	v_mul_f16_sdwa v12, v39, v2 dst_sel:DWORD dst_unused:UNUSED_PAD src0_sel:WORD_1 src1_sel:DWORD
	v_pack_b32_f16 v0, v0, v1
	v_fma_f16 v1, v37, v5, v10
	v_mul_f16_sdwa v10, v39, v11 dst_sel:DWORD dst_unused:UNUSED_PAD src0_sel:WORD_1 src1_sel:DWORD
	v_fma_f16 v5, v39, v11, -v12
	s_waitcnt vmcnt(8)
	v_lshrrev_b32_e32 v11, 16, v3
	v_pack_b32_f16 v1, v1, v4
	v_fma_f16 v2, v39, v2, v10
	v_mul_f16_sdwa v12, v36, v3 dst_sel:DWORD dst_unused:UNUSED_PAD src0_sel:WORD_1 src1_sel:DWORD
	v_mul_f16_sdwa v4, v36, v11 dst_sel:DWORD dst_unused:UNUSED_PAD src0_sel:WORD_1 src1_sel:DWORD
	ds_write_b32 v41, v1 offset:1152
	v_pack_b32_f16 v1, v2, v5
	v_fma_f16 v2, v36, v3, v4
	ds_write_b32 v41, v1 offset:2304
	v_fma_f16 v1, v36, v11, -v12
	v_pack_b32_f16 v1, v2, v1
	ds_write_b32 v41, v1 offset:3456
	s_waitcnt vmcnt(6)
	v_lshrrev_b32_e32 v1, 16, v6
	s_waitcnt vmcnt(5)
	v_mul_f16_sdwa v2, v35, v1 dst_sel:DWORD dst_unused:UNUSED_PAD src0_sel:WORD_1 src1_sel:DWORD
	v_mul_f16_sdwa v3, v35, v6 dst_sel:DWORD dst_unused:UNUSED_PAD src0_sel:WORD_1 src1_sel:DWORD
	v_fma_f16 v2, v35, v6, v2
	v_fma_f16 v1, v35, v1, -v3
	v_pack_b32_f16 v1, v2, v1
	ds_write2_b32 v41, v0, v1 offset1:144
	s_waitcnt vmcnt(4)
	v_lshrrev_b32_e32 v0, 16, v7
	v_mul_f16_sdwa v1, v34, v0 dst_sel:DWORD dst_unused:UNUSED_PAD src0_sel:WORD_1 src1_sel:DWORD
	v_mul_f16_sdwa v2, v34, v7 dst_sel:DWORD dst_unused:UNUSED_PAD src0_sel:WORD_1 src1_sel:DWORD
	v_fma_f16 v1, v34, v7, v1
	v_fma_f16 v0, v34, v0, -v2
	v_pack_b32_f16 v0, v1, v0
	ds_write_b32 v41, v0 offset:1728
	s_waitcnt vmcnt(3)
	v_lshrrev_b32_e32 v0, 16, v8
	s_waitcnt vmcnt(2)
	v_mul_f16_sdwa v1, v33, v0 dst_sel:DWORD dst_unused:UNUSED_PAD src0_sel:WORD_1 src1_sel:DWORD
	v_mul_f16_sdwa v2, v33, v8 dst_sel:DWORD dst_unused:UNUSED_PAD src0_sel:WORD_1 src1_sel:DWORD
	v_fma_f16 v1, v33, v8, v1
	v_fma_f16 v0, v33, v0, -v2
	v_pack_b32_f16 v0, v1, v0
	ds_write_b32 v41, v0 offset:2880
	s_waitcnt vmcnt(1)
	v_lshrrev_b32_e32 v0, 16, v9
	s_waitcnt vmcnt(0)
	v_mul_f16_sdwa v1, v32, v0 dst_sel:DWORD dst_unused:UNUSED_PAD src0_sel:WORD_1 src1_sel:DWORD
	v_mul_f16_sdwa v2, v32, v9 dst_sel:DWORD dst_unused:UNUSED_PAD src0_sel:WORD_1 src1_sel:DWORD
	v_fma_f16 v1, v32, v9, v1
	v_fma_f16 v0, v32, v0, -v2
	v_pack_b32_f16 v0, v1, v0
	ds_write_b32 v41, v0 offset:4032
	v_add_u32_e32 v0, 0x800, v41
	s_waitcnt lgkmcnt(0)
	s_barrier
	ds_read2_b32 v[6:7], v0 offset0:64 offset1:208
	v_add_u32_e32 v0, 0x400, v41
	v_add_u32_e32 v12, 0xc00, v41
	ds_read2_b32 v[4:5], v41 offset1:144
	ds_read2_b32 v[8:9], v0 offset0:32 offset1:176
	ds_read2_b32 v[10:11], v12 offset0:96 offset1:240
	s_waitcnt lgkmcnt(0)
	s_barrier
	v_pk_add_f16 v0, v4, v6 neg_lo:[0,1] neg_hi:[0,1]
	v_lshrrev_b32_e32 v1, 16, v0
	v_pk_add_f16 v2, v8, v10 neg_lo:[0,1] neg_hi:[0,1]
	v_sub_f16_sdwa v6, v0, v2 dst_sel:DWORD dst_unused:UNUSED_PAD src0_sel:DWORD src1_sel:WORD_1
	v_add_f16_e32 v3, v1, v2
	v_fma_f16 v10, v0, 2.0, -v6
	v_pk_fma_f16 v0, v4, 2.0, v0 op_sel_hi:[1,0,1] neg_lo:[0,0,1] neg_hi:[0,0,1]
	v_pk_fma_f16 v2, v8, 2.0, v2 op_sel_hi:[1,0,1] neg_lo:[0,0,1] neg_hi:[0,0,1]
	v_fma_f16 v1, v1, 2.0, -v3
	v_pk_add_f16 v2, v0, v2 neg_lo:[0,1] neg_hi:[0,1]
	v_lshlrev_b16_e32 v4, 2, v38
	v_pack_b32_f16 v3, v6, v3
	v_pack_b32_f16 v1, v10, v1
	v_pk_fma_f16 v0, v0, 2.0, v2 op_sel_hi:[1,0,1] neg_lo:[0,0,1] neg_hi:[0,0,1]
	v_lshlrev_b32_e32 v26, 2, v4
	ds_write_b128 v26, v[0:3]
	v_pk_add_f16 v0, v5, v7 neg_lo:[0,1] neg_hi:[0,1]
	v_pk_fma_f16 v3, v5, 2.0, v0 op_sel_hi:[1,0,1] neg_lo:[0,0,1] neg_hi:[0,0,1]
	v_pk_add_f16 v1, v9, v11 neg_lo:[0,1] neg_hi:[0,1]
	v_lshrrev_b32_e32 v5, 16, v0
	v_pk_fma_f16 v2, v9, 2.0, v1 op_sel_hi:[1,0,1] neg_lo:[0,0,1] neg_hi:[0,0,1]
	v_add_f16_e32 v9, v5, v1
	v_sub_f16_sdwa v4, v0, v1 dst_sel:DWORD dst_unused:UNUSED_PAD src0_sel:DWORD src1_sel:WORD_1
	v_fma_f16 v0, v0, 2.0, -v4
	v_fma_f16 v1, v5, 2.0, -v9
	v_pk_add_f16 v2, v3, v2 neg_lo:[0,1] neg_hi:[0,1]
	v_pack_b32_f16 v1, v0, v1
	v_pk_fma_f16 v0, v3, 2.0, v2 op_sel_hi:[1,0,1] neg_lo:[0,0,1] neg_hi:[0,0,1]
	v_pack_b32_f16 v3, v4, v9
	ds_write_b128 v28, v[0:3]
	v_add_u32_e32 v0, 0x600, v41
	s_waitcnt lgkmcnt(0)
	s_barrier
	ds_read2_b32 v[5:6], v0 offset1:144
	ds_read2_b32 v[7:8], v12 offset1:144
	;; [unrolled: 1-line block ×3, first 2 shown]
                                        ; implicit-def: $vgpr10
                                        ; implicit-def: $vgpr11
	s_and_saveexec_b64 s[2:3], s[0:1]
	s_cbranch_execz .LBB0_3
; %bb.2:
	v_add_u32_e32 v2, 0x80, v41
	ds_read_b32 v10, v41 offset:4224
	ds_read2st64_b32 v[3:4], v2 offset0:4 offset1:10
	s_waitcnt lgkmcnt(1)
	v_lshrrev_b32_e32 v11, 16, v10
	s_waitcnt lgkmcnt(0)
	v_lshrrev_b32_e32 v9, 16, v4
	v_mov_b32_e32 v2, v3
.LBB0_3:
	s_or_b64 exec, exec, s[2:3]
	v_and_b32_e32 v42, 3, v38
	v_lshlrev_b32_e32 v3, 3, v42
	global_load_dwordx2 v[18:19], v3, s[14:15]
	v_lshrrev_b32_e32 v14, 2, v38
	v_lshrrev_b32_e32 v23, 2, v15
	v_mul_u32_u24_e32 v14, 12, v14
	v_mul_u32_u24_e32 v23, 12, v23
	s_waitcnt lgkmcnt(2)
	v_lshrrev_b32_e32 v3, 16, v5
	s_waitcnt lgkmcnt(1)
	v_lshrrev_b32_e32 v12, 16, v7
	v_lshrrev_b32_e32 v20, 16, v6
	;; [unrolled: 1-line block ×3, first 2 shown]
	v_or_b32_e32 v14, v14, v42
	v_or_b32_e32 v23, v23, v42
	v_lshlrev_b32_e32 v44, 2, v14
	v_lshlrev_b32_e32 v43, 2, v23
	s_waitcnt lgkmcnt(0)
	v_lshrrev_b32_e32 v13, 16, v0
	v_lshrrev_b32_e32 v22, 16, v1
	s_movk_i32 s2, 0x3aee
	s_mov_b32 s3, 0xbaee
	s_waitcnt vmcnt(0)
	s_barrier
	v_add_co_u32_e32 v16, vcc, 0x120, v38
	v_mul_f16_sdwa v14, v3, v18 dst_sel:DWORD dst_unused:UNUSED_PAD src0_sel:DWORD src1_sel:WORD_1
	v_mul_f16_sdwa v23, v5, v18 dst_sel:DWORD dst_unused:UNUSED_PAD src0_sel:DWORD src1_sel:WORD_1
	;; [unrolled: 1-line block ×12, first 2 shown]
	v_fma_f16 v23, v3, v18, v23
	v_fma_f16 v12, v12, v19, v24
	v_fma_f16 v14, v5, v18, -v14
	v_fma_f16 v24, v7, v19, -v25
	;; [unrolled: 1-line block ×4, first 2 shown]
	v_fma_f16 v20, v20, v18, v29
	v_fma_f16 v21, v21, v19, v31
	v_fma_f16 v3, v4, v18, -v45
	v_fma_f16 v5, v9, v18, v46
	v_fma_f16 v4, v10, v19, -v47
	v_fma_f16 v6, v11, v19, v48
	v_add_f16_e32 v9, v0, v14
	v_add_f16_e32 v10, v14, v24
	v_sub_f16_e32 v11, v14, v24
	v_sub_f16_e32 v14, v23, v12
	v_add_f16_e32 v25, v13, v23
	v_add_f16_e32 v23, v23, v12
	;; [unrolled: 1-line block ×3, first 2 shown]
	v_sub_f16_e32 v31, v20, v21
	v_add_f16_e32 v45, v22, v20
	v_add_f16_e32 v20, v20, v21
	;; [unrolled: 1-line block ×3, first 2 shown]
	v_sub_f16_e32 v30, v7, v8
	v_add_f16_e32 v9, v9, v24
	v_add_f16_e32 v12, v25, v12
	v_fma_f16 v13, v23, -0.5, v13
	v_fma_f16 v10, v10, -0.5, v0
	;; [unrolled: 1-line block ×4, first 2 shown]
	v_pack_b32_f16 v9, v9, v12
	v_fma_f16 v12, v14, s2, v10
	v_fma_f16 v22, v11, s3, v13
	;; [unrolled: 1-line block ×7, first 2 shown]
	v_add_f16_e32 v8, v29, v8
	v_add_f16_e32 v21, v45, v21
	v_pack_b32_f16 v12, v12, v22
	v_pack_b32_f16 v1, v13, v1
	v_add_f16_e32 v46, v3, v4
	v_add_f16_e32 v47, v5, v6
	v_pack_b32_f16 v8, v8, v21
	v_pack_b32_f16 v10, v10, v11
	ds_write2_b32 v44, v9, v12 offset1:4
	ds_write_b32 v44, v10 offset:32
	ds_write2_b32 v43, v8, v1 offset1:4
	v_lshrrev_b32_e32 v1, 16, v2
	v_sub_f16_e32 v7, v5, v6
	v_fma_f16 v0, v46, -0.5, v2
	v_fma_f16 v20, v30, s2, v20
	v_fma_f16 v8, v47, -0.5, v1
	v_sub_f16_e32 v9, v3, v4
	v_fma_f16 v27, v7, s3, v0
	v_pack_b32_f16 v10, v14, v20
	v_fma_f16 v29, v9, s2, v8
	v_lshrrev_b32_e32 v45, 2, v16
	ds_write_b32 v43, v10 offset:32
	s_and_saveexec_b64 s[2:3], s[0:1]
	s_cbranch_execz .LBB0_5
; %bb.4:
	v_mul_f16_e32 v7, 0x3aee, v7
	v_mul_f16_e32 v9, 0x3aee, v9
	v_add_f16_e32 v1, v1, v5
	v_add_f16_e32 v2, v2, v3
	v_mul_u32_u24_e32 v3, 12, v45
	v_sub_f16_e32 v8, v8, v9
	v_add_f16_e32 v0, v7, v0
	v_add_f16_e32 v1, v1, v6
	;; [unrolled: 1-line block ×3, first 2 shown]
	v_or_b32_e32 v3, v3, v42
	v_lshlrev_b32_e32 v3, 2, v3
	v_pack_b32_f16 v1, v2, v1
	v_pack_b32_f16 v0, v0, v8
	s_mov_b32 s6, 0x5040100
	ds_write2_b32 v3, v1, v0 offset1:4
	v_perm_b32 v0, v29, v27, s6
	ds_write_b32 v3, v0 offset:32
.LBB0_5:
	s_or_b64 exec, exec, s[2:3]
	s_movk_i32 s2, 0xab
	v_mul_lo_u16_sdwa v0, v38, s2 dst_sel:DWORD dst_unused:UNUSED_PAD src0_sel:BYTE_0 src1_sel:DWORD
	v_lshrrev_b16_e32 v20, 11, v0
	v_mul_lo_u16_e32 v0, 12, v20
	v_sub_u16_e32 v0, v38, v0
	v_and_b32_e32 v21, 0xff, v0
	v_mad_u64_u32 v[4:5], s[2:3], v21, 28, s[14:15]
	s_waitcnt lgkmcnt(0)
	s_barrier
	global_load_dwordx4 v[0:3], v[4:5], off offset:32
	global_load_dwordx3 v[8:10], v[4:5], off offset:48
	v_add_u32_e32 v6, 0x400, v41
	v_add_u32_e32 v11, 0x800, v41
	ds_read2_b32 v[4:5], v41 offset1:144
	v_add_u32_e32 v22, 0xc00, v41
	ds_read2_b32 v[6:7], v6 offset0:32 offset1:176
	ds_read2_b32 v[11:12], v11 offset0:64 offset1:208
	;; [unrolled: 1-line block ×3, first 2 shown]
	s_mov_b32 s2, 0xb9a8
	s_movk_i32 s3, 0x39a8
	s_waitcnt lgkmcnt(3)
	v_lshrrev_b32_e32 v24, 16, v5
	s_waitcnt lgkmcnt(2)
	v_lshrrev_b32_e32 v25, 16, v6
	v_lshrrev_b32_e32 v30, 16, v7
	s_waitcnt lgkmcnt(1)
	v_lshrrev_b32_e32 v31, 16, v11
	;; [unrolled: 3-line block ×3, first 2 shown]
	v_lshrrev_b32_e32 v48, 16, v14
	v_lshrrev_b32_e32 v23, 16, v4
	v_mul_u32_u24_e32 v20, 0x60, v20
	v_or_b32_e32 v20, v20, v21
	s_waitcnt vmcnt(0)
	s_barrier
	v_mul_f16_sdwa v49, v25, v1 dst_sel:DWORD dst_unused:UNUSED_PAD src0_sel:DWORD src1_sel:WORD_1
	v_mul_f16_sdwa v51, v30, v2 dst_sel:DWORD dst_unused:UNUSED_PAD src0_sel:DWORD src1_sel:WORD_1
	;; [unrolled: 1-line block ×14, first 2 shown]
	v_fma_f16 v6, v6, v1, -v49
	v_fma_f16 v7, v7, v2, -v51
	;; [unrolled: 1-line block ×7, first 2 shown]
	v_fma_f16 v24, v24, v0, v57
	v_fma_f16 v31, v31, v3, v54
	;; [unrolled: 1-line block ×3, first 2 shown]
	v_sub_f16_e32 v11, v4, v11
	v_sub_f16_e32 v13, v6, v13
	;; [unrolled: 1-line block ×4, first 2 shown]
	v_fma_f16 v25, v25, v1, v50
	v_fma_f16 v30, v30, v2, v52
	;; [unrolled: 1-line block ×4, first 2 shown]
	v_sub_f16_e32 v31, v23, v31
	v_sub_f16_e32 v46, v24, v46
	v_fma_f16 v4, v4, 2.0, -v11
	v_fma_f16 v6, v6, 2.0, -v13
	v_fma_f16 v5, v5, 2.0, -v12
	v_fma_f16 v7, v7, 2.0, -v14
	v_sub_f16_e32 v47, v25, v47
	v_sub_f16_e32 v48, v30, v48
	v_add_f16_e32 v13, v31, v13
	v_add_f16_e32 v14, v46, v14
	v_sub_f16_e32 v6, v4, v6
	v_sub_f16_e32 v7, v5, v7
	v_fma_f16 v23, v23, 2.0, -v31
	v_fma_f16 v25, v25, 2.0, -v47
	;; [unrolled: 1-line block ×4, first 2 shown]
	v_sub_f16_e32 v47, v11, v47
	v_sub_f16_e32 v48, v12, v48
	v_fma_f16 v31, v31, 2.0, -v13
	v_fma_f16 v46, v46, 2.0, -v14
	;; [unrolled: 1-line block ×4, first 2 shown]
	v_sub_f16_e32 v25, v23, v25
	v_fma_f16 v11, v11, 2.0, -v47
	v_sub_f16_e32 v30, v24, v30
	v_fma_f16 v12, v12, 2.0, -v48
	v_fma_f16 v50, v46, s2, v31
	v_sub_f16_e32 v51, v4, v5
	v_fma_f16 v24, v24, 2.0, -v30
	v_fma_f16 v49, v12, s2, v11
	v_fma_f16 v12, v12, s3, v50
	v_fma_f16 v50, v4, 2.0, -v51
	v_sub_f16_e32 v4, v6, v30
	v_add_f16_e32 v30, v25, v7
	v_fma_f16 v23, v23, 2.0, -v25
	v_fma_f16 v7, v25, 2.0, -v30
	v_fma_f16 v5, v48, s3, v47
	v_fma_f16 v25, v14, s3, v13
	v_fma_f16 v52, v31, 2.0, -v12
	v_fma_f16 v5, v14, s2, v5
	v_fma_f16 v31, v48, s3, v25
	v_sub_f16_e32 v24, v23, v24
	v_fma_f16 v49, v46, s2, v49
	v_fma_f16 v6, v6, 2.0, -v4
	v_fma_f16 v14, v47, 2.0, -v5
	;; [unrolled: 1-line block ×5, first 2 shown]
	v_lshlrev_b32_e32 v46, 2, v20
	v_pack_b32_f16 v6, v6, v7
	v_pack_b32_f16 v7, v14, v13
	;; [unrolled: 1-line block ×4, first 2 shown]
	ds_write2_b32 v46, v6, v7 offset0:24 offset1:36
	v_pack_b32_f16 v6, v51, v24
	v_pack_b32_f16 v7, v49, v12
	ds_write2_b32 v46, v20, v11 offset1:12
	ds_write2_b32 v46, v6, v7 offset0:48 offset1:60
	v_pack_b32_f16 v6, v4, v30
	v_pack_b32_f16 v7, v5, v31
	v_add_u32_e32 v11, 0x600, v41
	ds_write2_b32 v46, v6, v7 offset0:72 offset1:84
	s_waitcnt lgkmcnt(0)
	s_barrier
	ds_read2_b32 v[6:7], v41 offset1:144
	ds_read2_b32 v[11:12], v11 offset1:144
	ds_read2_b32 v[13:14], v22 offset1:144
	s_and_saveexec_b64 s[2:3], s[0:1]
	s_cbranch_execz .LBB0_7
; %bb.6:
	v_add_u32_e32 v4, 0x80, v41
	ds_read2st64_b32 v[4:5], v4 offset0:4 offset1:10
	ds_read_b32 v27, v41 offset:4224
	s_waitcnt lgkmcnt(1)
	v_lshrrev_b32_e32 v30, 16, v4
	v_lshrrev_b32_e32 v31, 16, v5
	s_waitcnt lgkmcnt(0)
	v_lshrrev_b32_e32 v29, 16, v27
.LBB0_7:
	s_or_b64 exec, exec, s[2:3]
	v_add_co_u32_e32 v20, vcc, 0xffffffa0, v38
	v_addc_co_u32_e64 v21, s[2:3], 0, -1, vcc
	v_cndmask_b32_e64 v48, v21, 0, s[0:1]
	v_cndmask_b32_e64 v47, v20, v38, s[0:1]
	v_lshlrev_b64 v[20:21], 3, v[47:48]
	v_mov_b32_e32 v48, s15
	v_add_co_u32_e32 v20, vcc, s14, v20
	v_addc_co_u32_e32 v21, vcc, v48, v21, vcc
	s_mov_b32 s2, 0xaaab
	global_load_dwordx2 v[22:23], v[20:21], off offset:368
	v_mul_u32_u24_sdwa v20, v15, s2 dst_sel:DWORD dst_unused:UNUSED_PAD src0_sel:WORD_0 src1_sel:DWORD
	v_lshrrev_b32_e32 v49, 22, v20
	v_mul_lo_u16_e32 v20, 0x60, v49
	v_sub_u16_e32 v52, v15, v20
	v_lshlrev_b16_e32 v15, 3, v52
	v_add_co_u32_e32 v20, vcc, s14, v15
	v_mul_u32_u24_sdwa v15, v16, s2 dst_sel:DWORD dst_unused:UNUSED_PAD src0_sel:WORD_0 src1_sel:DWORD
	v_lshrrev_b32_e32 v15, 22, v15
	v_mul_lo_u16_e32 v15, 0x60, v15
	v_sub_u16_e32 v53, v16, v15
	v_addc_co_u32_e32 v21, vcc, 0, v48, vcc
	v_lshlrev_b16_e32 v15, 3, v53
	v_add_co_u32_e32 v15, vcc, s14, v15
	v_addc_co_u32_e32 v16, vcc, 0, v48, vcc
	global_load_dwordx2 v[24:25], v[20:21], off offset:368
	s_waitcnt lgkmcnt(0)
	v_lshrrev_b32_e32 v48, 16, v13
	global_load_dwordx2 v[20:21], v[15:16], off offset:368
	v_lshrrev_b32_e32 v16, 16, v11
	v_lshrrev_b32_e32 v51, 16, v12
	;; [unrolled: 1-line block ×5, first 2 shown]
	s_movk_i32 s2, 0x3aee
	s_mov_b32 s3, 0xbaee
	s_waitcnt vmcnt(0)
	s_barrier
	v_mul_f16_sdwa v55, v16, v22 dst_sel:DWORD dst_unused:UNUSED_PAD src0_sel:DWORD src1_sel:WORD_1
	v_mul_f16_sdwa v56, v11, v22 dst_sel:DWORD dst_unused:UNUSED_PAD src0_sel:DWORD src1_sel:WORD_1
	;; [unrolled: 1-line block ×4, first 2 shown]
	v_fma_f16 v55, v11, v22, -v55
	v_fma_f16 v16, v16, v22, v56
	v_fma_f16 v56, v13, v23, -v57
	v_fma_f16 v48, v48, v23, v58
	v_mul_f16_sdwa v11, v51, v24 dst_sel:DWORD dst_unused:UNUSED_PAD src0_sel:DWORD src1_sel:WORD_1
	v_mul_f16_sdwa v13, v12, v24 dst_sel:DWORD dst_unused:UNUSED_PAD src0_sel:DWORD src1_sel:WORD_1
	;; [unrolled: 1-line block ×7, first 2 shown]
	v_fma_f16 v63, v12, v24, -v11
	v_fma_f16 v51, v51, v24, v13
	v_fma_f16 v14, v14, v25, -v57
	v_fma_f16 v13, v29, v21, v62
	v_add_f16_e32 v29, v55, v56
	v_add_f16_e32 v57, v15, v16
	v_mul_f16_sdwa v59, v31, v20 dst_sel:DWORD dst_unused:UNUSED_PAD src0_sel:DWORD src1_sel:WORD_1
	v_fma_f16 v54, v54, v25, v58
	v_fma_f16 v12, v31, v20, v60
	v_fma_f16 v11, v27, v21, -v61
	v_add_f16_e32 v27, v6, v55
	v_sub_f16_e32 v31, v16, v48
	v_add_f16_e32 v16, v16, v48
	v_fma_f16 v6, v29, -0.5, v6
	v_add_f16_e32 v29, v57, v48
	v_add_f16_e32 v48, v63, v14
	v_sub_f16_e32 v55, v55, v56
	v_add_f16_e32 v27, v27, v56
	v_fma_f16 v15, v16, -0.5, v15
	v_add_f16_e32 v16, v7, v63
	v_sub_f16_e32 v56, v51, v54
	v_add_f16_e32 v57, v50, v51
	v_fma_f16 v58, v31, s2, v6
	v_fma_f16 v31, v31, s3, v6
	v_fma_f16 v6, v48, -0.5, v7
	v_fma_f16 v5, v5, v20, -v59
	v_add_f16_e32 v51, v51, v54
	v_add_f16_e32 v16, v16, v14
	v_add_f16_e32 v54, v57, v54
	v_fma_f16 v57, v56, s2, v6
	v_fma_f16 v56, v56, s3, v6
	v_sub_f16_e32 v6, v63, v14
	v_add_f16_e32 v14, v12, v13
	v_fma_f16 v59, v55, s3, v15
	v_fma_f16 v55, v55, s2, v15
	v_fma_f16 v7, v51, -0.5, v50
	v_fma_f16 v14, v14, -0.5, v30
	v_sub_f16_e32 v15, v5, v11
	v_fma_f16 v61, v6, s2, v7
	v_fma_f16 v51, v15, s2, v14
	s_movk_i32 s2, 0x5f
	v_mov_b32_e32 v48, 0x120
	v_cmp_lt_u16_e32 vcc, s2, v38
	v_fma_f16 v60, v6, s3, v7
	v_add_f16_e32 v6, v5, v11
	v_cndmask_b32_e32 v48, 0, v48, vcc
	v_fma_f16 v6, v6, -0.5, v4
	v_sub_f16_e32 v7, v12, v13
	v_add_lshl_u32 v48, v47, v48, 2
	v_pack_b32_f16 v27, v27, v29
	v_pack_b32_f16 v29, v58, v59
	v_fma_f16 v50, v7, s3, v6
	s_movk_i32 s3, 0x120
	ds_write2_b32 v48, v27, v29 offset1:96
	v_pack_b32_f16 v27, v31, v55
	ds_write_b32 v48, v27 offset:768
	v_mad_legacy_u16 v27, v49, s3, v52
	v_lshlrev_b32_e32 v49, 2, v27
	v_pack_b32_f16 v16, v16, v54
	v_pack_b32_f16 v27, v57, v60
	ds_write2_b32 v49, v16, v27 offset1:96
	v_pack_b32_f16 v16, v56, v61
	v_lshlrev_b32_e32 v47, 2, v53
	ds_write_b32 v49, v16 offset:768
	s_and_saveexec_b64 s[2:3], s[0:1]
	s_cbranch_execz .LBB0_9
; %bb.8:
	v_mul_f16_e32 v7, 0x3aee, v7
	v_mul_f16_e32 v15, 0x3aee, v15
	v_add_f16_e32 v6, v7, v6
	v_add_f16_e32 v7, v30, v12
	;; [unrolled: 1-line block ×3, first 2 shown]
	v_sub_f16_e32 v14, v14, v15
	v_add_f16_e32 v7, v7, v13
	v_add_f16_e32 v4, v4, v11
	v_pack_b32_f16 v4, v4, v7
	v_pack_b32_f16 v5, v6, v14
	v_add_u32_e32 v6, 0xc00, v47
	s_mov_b32 s6, 0x5040100
	ds_write2_b32 v6, v4, v5 offset0:96 offset1:192
	v_perm_b32 v4, v51, v50, s6
	ds_write_b32 v47, v4 offset:4224
.LBB0_9:
	s_or_b64 exec, exec, s[2:3]
	v_mad_u64_u32 v[4:5], s[2:3], v38, 12, s[14:15]
	s_waitcnt lgkmcnt(0)
	s_barrier
	global_load_dwordx3 v[11:13], v[4:5], off offset:1136
	global_load_dwordx3 v[14:16], v[4:5], off offset:2864
	v_lshlrev_b32_e32 v6, 2, v38
	v_add_u32_e32 v31, 0x400, v41
	ds_read2_b32 v[4:5], v41 offset1:144
	v_add_u32_e32 v54, 0x800, v41
	v_add_u32_e32 v57, 0xc00, v41
	v_add_co_u32_e32 v55, vcc, s12, v6
	ds_read2_b32 v[6:7], v31 offset0:32 offset1:176
	ds_read2_b32 v[29:30], v54 offset0:64 offset1:208
	;; [unrolled: 1-line block ×3, first 2 shown]
	s_waitcnt lgkmcnt(3)
	v_lshrrev_b32_e32 v56, 16, v4
	v_lshrrev_b32_e32 v58, 16, v5
	s_waitcnt lgkmcnt(2)
	v_lshrrev_b32_e32 v59, 16, v6
	s_waitcnt lgkmcnt(1)
	;; [unrolled: 2-line block ×3, first 2 shown]
	v_lshrrev_b32_e32 v61, 16, v52
	v_lshrrev_b32_e32 v62, 16, v7
	;; [unrolled: 1-line block ×4, first 2 shown]
	v_mov_b32_e32 v27, s13
	v_addc_co_u32_e32 v27, vcc, 0, v27, vcc
	s_movk_i32 s2, 0x1200
	s_waitcnt vmcnt(1)
	v_mul_f16_sdwa v65, v59, v11 dst_sel:DWORD dst_unused:UNUSED_PAD src0_sel:DWORD src1_sel:WORD_1
	v_mul_f16_sdwa v66, v6, v11 dst_sel:DWORD dst_unused:UNUSED_PAD src0_sel:DWORD src1_sel:WORD_1
	;; [unrolled: 1-line block ×6, first 2 shown]
	s_waitcnt vmcnt(0)
	v_mul_f16_sdwa v71, v62, v14 dst_sel:DWORD dst_unused:UNUSED_PAD src0_sel:DWORD src1_sel:WORD_1
	v_mul_f16_sdwa v72, v7, v14 dst_sel:DWORD dst_unused:UNUSED_PAD src0_sel:DWORD src1_sel:WORD_1
	;; [unrolled: 1-line block ×6, first 2 shown]
	v_fma_f16 v6, v6, v11, -v65
	v_fma_f16 v59, v59, v11, v66
	v_fma_f16 v29, v29, v12, -v67
	v_fma_f16 v60, v60, v12, v68
	;; [unrolled: 2-line block ×6, first 2 shown]
	v_sub_f16_e32 v29, v4, v29
	v_sub_f16_e32 v60, v56, v60
	;; [unrolled: 1-line block ×8, first 2 shown]
	v_fma_f16 v4, v4, 2.0, -v29
	v_fma_f16 v56, v56, 2.0, -v60
	;; [unrolled: 1-line block ×8, first 2 shown]
	v_sub_f16_e32 v61, v29, v61
	v_add_f16_e32 v52, v60, v52
	v_sub_f16_e32 v6, v4, v6
	v_sub_f16_e32 v59, v56, v59
	;; [unrolled: 1-line block ×5, first 2 shown]
	v_add_f16_e32 v53, v63, v53
	v_fma_f16 v29, v29, 2.0, -v61
	v_fma_f16 v60, v60, 2.0, -v52
	;; [unrolled: 1-line block ×8, first 2 shown]
	v_pack_b32_f16 v52, v61, v52
	v_pack_b32_f16 v29, v29, v60
	;; [unrolled: 1-line block ×5, first 2 shown]
	ds_write_b32 v41, v52 offset:3456
	ds_write_b32 v41, v29 offset:1152
	;; [unrolled: 1-line block ×3, first 2 shown]
	ds_write2_b32 v41, v4, v5 offset1:144
	v_pack_b32_f16 v4, v30, v63
	ds_write_b32 v41, v4 offset:1728
	v_pack_b32_f16 v4, v7, v62
	ds_write_b32 v41, v4 offset:2880
	;; [unrolled: 2-line block ×3, first 2 shown]
	v_add_co_u32_e32 v4, vcc, s2, v55
	s_movk_i32 s2, 0x1000
	v_add_co_u32_e64 v5, s[2:3], s2, v55
	v_addc_co_u32_e64 v6, s[2:3], 0, v27, s[2:3]
	s_waitcnt lgkmcnt(0)
	s_barrier
	global_load_dword v6, v[5:6], off offset:512
	v_addc_co_u32_e32 v5, vcc, 0, v27, vcc
	global_load_dword v7, v[4:5], off offset:576
	global_load_dword v27, v[4:5], off offset:1152
	;; [unrolled: 1-line block ×7, first 2 shown]
	ds_read2_b32 v[4:5], v41 offset1:144
	v_add_u32_e32 v59, 0x200, v41
	v_add_u32_e32 v60, 0x600, v41
	;; [unrolled: 1-line block ×3, first 2 shown]
	s_waitcnt lgkmcnt(0)
	v_lshrrev_b32_e32 v29, 16, v4
	v_lshrrev_b32_e32 v30, 16, v5
	s_waitcnt vmcnt(6)
	v_mul_f16_sdwa v64, v30, v7 dst_sel:DWORD dst_unused:UNUSED_PAD src0_sel:DWORD src1_sel:WORD_1
	v_mul_f16_sdwa v65, v5, v7 dst_sel:DWORD dst_unused:UNUSED_PAD src0_sel:DWORD src1_sel:WORD_1
	v_fma_f16 v30, v30, v7, v65
	v_mul_f16_sdwa v62, v29, v6 dst_sel:DWORD dst_unused:UNUSED_PAD src0_sel:DWORD src1_sel:WORD_1
	v_mul_f16_sdwa v63, v4, v6 dst_sel:DWORD dst_unused:UNUSED_PAD src0_sel:DWORD src1_sel:WORD_1
	v_fma_f16 v4, v4, v6, -v62
	v_fma_f16 v6, v29, v6, v63
	v_pack_b32_f16 v4, v4, v6
	v_fma_f16 v29, v5, v7, -v64
	ds_write_b32 v41, v4
	ds_read2_b32 v[4:5], v31 offset0:32 offset1:176
	ds_read2_b32 v[6:7], v54 offset0:64 offset1:208
	v_pack_b32_f16 v62, v29, v30
	ds_read2_b32 v[29:30], v57 offset0:96 offset1:240
	s_waitcnt lgkmcnt(2)
	v_lshrrev_b32_e32 v63, 16, v4
	s_waitcnt vmcnt(5)
	v_mul_f16_sdwa v64, v4, v27 dst_sel:DWORD dst_unused:UNUSED_PAD src0_sel:DWORD src1_sel:WORD_1
	s_waitcnt lgkmcnt(1)
	v_lshrrev_b32_e32 v65, 16, v6
	s_waitcnt vmcnt(4)
	v_mul_f16_sdwa v66, v6, v52 dst_sel:DWORD dst_unused:UNUSED_PAD src0_sel:DWORD src1_sel:WORD_1
	;; [unrolled: 4-line block ×3, first 2 shown]
	v_lshrrev_b32_e32 v69, 16, v5
	s_waitcnt vmcnt(2)
	v_mul_f16_sdwa v70, v5, v55 dst_sel:DWORD dst_unused:UNUSED_PAD src0_sel:DWORD src1_sel:WORD_1
	v_lshrrev_b32_e32 v71, 16, v7
	s_waitcnt vmcnt(1)
	v_mul_f16_sdwa v72, v7, v56 dst_sel:DWORD dst_unused:UNUSED_PAD src0_sel:DWORD src1_sel:WORD_1
	;; [unrolled: 3-line block ×3, first 2 shown]
	v_mul_f16_sdwa v75, v63, v27 dst_sel:DWORD dst_unused:UNUSED_PAD src0_sel:DWORD src1_sel:WORD_1
	v_fma_f16 v63, v63, v27, v64
	v_mul_f16_sdwa v64, v65, v52 dst_sel:DWORD dst_unused:UNUSED_PAD src0_sel:DWORD src1_sel:WORD_1
	v_fma_f16 v65, v65, v52, v66
	;; [unrolled: 2-line block ×6, first 2 shown]
	v_fma_f16 v4, v4, v27, -v75
	v_fma_f16 v27, v29, v53, -v66
	;; [unrolled: 1-line block ×6, first 2 shown]
	v_pack_b32_f16 v4, v4, v63
	v_pack_b32_f16 v5, v5, v69
	;; [unrolled: 1-line block ×6, first 2 shown]
	ds_write2_b32 v59, v62, v4 offset0:16 offset1:160
	ds_write2_b32 v60, v5, v6 offset0:48 offset1:192
	;; [unrolled: 1-line block ×3, first 2 shown]
	ds_write_b32 v41, v29 offset:4032
	s_waitcnt lgkmcnt(0)
	s_barrier
	ds_read2_b32 v[4:5], v41 offset1:144
	ds_read2_b32 v[29:30], v31 offset0:32 offset1:176
	ds_read2_b32 v[53:54], v54 offset0:64 offset1:208
	;; [unrolled: 1-line block ×3, first 2 shown]
	s_waitcnt lgkmcnt(0)
	s_barrier
	v_pk_add_f16 v7, v5, v54 neg_lo:[0,1] neg_hi:[0,1]
	v_pk_add_f16 v31, v30, v56 neg_lo:[0,1] neg_hi:[0,1]
	v_pk_fma_f16 v6, v30, 2.0, v31 op_sel_hi:[1,0,1] neg_lo:[0,0,1] neg_hi:[0,0,1]
	v_add_f16_sdwa v27, v7, v31 dst_sel:DWORD dst_unused:UNUSED_PAD src0_sel:DWORD src1_sel:WORD_1
	v_lshrrev_b32_e32 v30, 16, v7
	v_pk_fma_f16 v5, v5, 2.0, v7 op_sel_hi:[1,0,1] neg_lo:[0,0,1] neg_hi:[0,0,1]
	v_sub_f16_e32 v52, v30, v31
	v_fma_f16 v31, v7, 2.0, -v27
	v_pk_add_f16 v7, v4, v53 neg_lo:[0,1] neg_hi:[0,1]
	v_pk_add_f16 v54, v29, v55 neg_lo:[0,1] neg_hi:[0,1]
	v_pk_fma_f16 v4, v4, 2.0, v7 op_sel_hi:[1,0,1] neg_lo:[0,0,1] neg_hi:[0,0,1]
	v_pk_fma_f16 v29, v29, 2.0, v54 op_sel_hi:[1,0,1] neg_lo:[0,0,1] neg_hi:[0,0,1]
	v_pk_add_f16 v55, v4, v29 neg_lo:[0,1] neg_hi:[0,1]
	v_lshrrev_b32_e32 v29, 16, v7
	v_pk_fma_f16 v53, v4, 2.0, v55 op_sel_hi:[1,0,1] neg_lo:[0,0,1] neg_hi:[0,0,1]
	v_add_f16_sdwa v4, v7, v54 dst_sel:DWORD dst_unused:UNUSED_PAD src0_sel:DWORD src1_sel:WORD_1
	v_sub_f16_e32 v54, v29, v54
	v_pk_add_f16 v6, v5, v6 neg_lo:[0,1] neg_hi:[0,1]
	v_fma_f16 v30, v30, 2.0, -v52
	v_fma_f16 v7, v7, 2.0, -v4
	;; [unrolled: 1-line block ×3, first 2 shown]
	v_pack_b32_f16 v56, v4, v54
	v_pack_b32_f16 v54, v7, v29
	v_pk_fma_f16 v4, v5, 2.0, v6 op_sel_hi:[1,0,1] neg_lo:[0,0,1] neg_hi:[0,0,1]
	v_pack_b32_f16 v7, v27, v52
	v_pack_b32_f16 v5, v31, v30
	ds_write_b128 v26, v[53:56]
	ds_write_b128 v28, v[4:7]
	s_waitcnt lgkmcnt(0)
	s_barrier
	ds_read2_b32 v[4:5], v41 offset1:144
	ds_read2_b32 v[30:31], v60 offset1:144
	;; [unrolled: 1-line block ×3, first 2 shown]
	s_and_saveexec_b64 s[2:3], s[0:1]
	s_cbranch_execz .LBB0_11
; %bb.10:
	v_add_u32_e32 v6, 0x80, v41
	ds_read_b32 v50, v41 offset:4224
	ds_read2st64_b32 v[26:27], v6 offset0:4 offset1:10
	s_waitcnt lgkmcnt(1)
	v_lshrrev_b32_e32 v51, 16, v50
	s_waitcnt lgkmcnt(0)
	v_lshrrev_b32_e32 v52, 16, v27
	v_mov_b32_e32 v6, v26
.LBB0_11:
	s_or_b64 exec, exec, s[2:3]
	s_waitcnt lgkmcnt(1)
	v_lshrrev_b32_e32 v7, 16, v30
	v_mul_f16_sdwa v57, v18, v7 dst_sel:DWORD dst_unused:UNUSED_PAD src0_sel:WORD_1 src1_sel:DWORD
	s_waitcnt lgkmcnt(0)
	v_lshrrev_b32_e32 v26, 16, v28
	v_fma_f16 v57, v18, v30, v57
	v_mul_f16_sdwa v30, v18, v30 dst_sel:DWORD dst_unused:UNUSED_PAD src0_sel:WORD_1 src1_sel:DWORD
	v_fma_f16 v30, v18, v7, -v30
	v_mul_f16_sdwa v7, v19, v26 dst_sel:DWORD dst_unused:UNUSED_PAD src0_sel:WORD_1 src1_sel:DWORD
	v_lshrrev_b32_e32 v55, 16, v31
	v_fma_f16 v58, v19, v28, v7
	v_mul_f16_sdwa v7, v19, v28 dst_sel:DWORD dst_unused:UNUSED_PAD src0_sel:WORD_1 src1_sel:DWORD
	v_fma_f16 v59, v19, v26, -v7
	v_mul_f16_sdwa v7, v18, v55 dst_sel:DWORD dst_unused:UNUSED_PAD src0_sel:WORD_1 src1_sel:DWORD
	;; [unrolled: 5-line block ×3, first 2 shown]
	v_fma_f16 v55, v19, v29, v7
	v_mul_f16_sdwa v7, v19, v29 dst_sel:DWORD dst_unused:UNUSED_PAD src0_sel:WORD_1 src1_sel:DWORD
	v_fma_f16 v29, v19, v56, -v7
	v_mul_f16_sdwa v7, v18, v52 dst_sel:DWORD dst_unused:UNUSED_PAD src0_sel:WORD_1 src1_sel:DWORD
	v_mul_f16_sdwa v26, v18, v27 dst_sel:DWORD dst_unused:UNUSED_PAD src0_sel:WORD_1 src1_sel:DWORD
	v_fma_f16 v7, v18, v27, v7
	v_fma_f16 v27, v18, v52, -v26
	v_mul_f16_sdwa v18, v19, v51 dst_sel:DWORD dst_unused:UNUSED_PAD src0_sel:WORD_1 src1_sel:DWORD
	v_fma_f16 v26, v19, v50, v18
	v_mul_f16_sdwa v18, v19, v50 dst_sel:DWORD dst_unused:UNUSED_PAD src0_sel:WORD_1 src1_sel:DWORD
	v_fma_f16 v28, v19, v51, -v18
	v_add_f16_e32 v18, v4, v57
	v_add_f16_e32 v50, v18, v58
	;; [unrolled: 1-line block ×3, first 2 shown]
	v_lshrrev_b32_e32 v53, 16, v4
	v_fma_f16 v4, v18, -0.5, v4
	v_sub_f16_e32 v18, v30, v59
	s_mov_b32 s2, 0xbaee
	s_movk_i32 s3, 0x3aee
	v_fma_f16 v51, v18, s2, v4
	v_fma_f16 v52, v18, s3, v4
	v_add_f16_e32 v4, v53, v30
	v_add_f16_e32 v56, v4, v59
	;; [unrolled: 1-line block ×3, first 2 shown]
	v_fma_f16 v4, v4, -0.5, v53
	v_sub_f16_e32 v18, v57, v58
	v_fma_f16 v53, v18, s3, v4
	v_fma_f16 v57, v18, s2, v4
	v_add_f16_e32 v4, v5, v60
	v_add_f16_e32 v58, v4, v55
	;; [unrolled: 1-line block ×3, first 2 shown]
	v_lshrrev_b32_e32 v54, 16, v5
	v_fma_f16 v4, v4, -0.5, v5
	v_sub_f16_e32 v5, v31, v29
	v_fma_f16 v59, v5, s2, v4
	v_fma_f16 v61, v5, s3, v4
	v_add_f16_e32 v4, v54, v31
	v_add_f16_e32 v62, v4, v29
	;; [unrolled: 1-line block ×3, first 2 shown]
	v_fma_f16 v4, v4, -0.5, v54
	v_sub_f16_e32 v5, v60, v55
	v_pack_b32_f16 v50, v50, v56
	v_pack_b32_f16 v51, v51, v53
	v_fma_f16 v54, v5, s3, v4
	v_fma_f16 v55, v5, s2, v4
	v_add_f16_e32 v4, v26, v7
	v_add_f16_e32 v19, v28, v27
	v_lshrrev_b32_e32 v5, 16, v6
	s_barrier
	ds_write2_b32 v44, v50, v51 offset1:4
	v_pack_b32_f16 v50, v52, v57
	v_fma_f16 v4, v4, -0.5, v6
	v_sub_f16_e32 v29, v27, v28
	v_fma_f16 v30, v19, -0.5, v5
	v_sub_f16_e32 v31, v7, v26
	ds_write_b32 v44, v50 offset:32
	v_pack_b32_f16 v44, v58, v62
	v_pack_b32_f16 v50, v59, v54
	v_fma_f16 v18, v29, s3, v4
	v_fma_f16 v19, v31, s2, v30
	ds_write2_b32 v43, v44, v50 offset1:4
	v_pack_b32_f16 v44, v61, v55
	ds_write_b32 v43, v44 offset:32
	s_and_saveexec_b64 s[2:3], s[0:1]
	s_cbranch_execz .LBB0_13
; %bb.12:
	v_mul_f16_e32 v29, 0x3aee, v29
	v_mul_f16_e32 v31, 0x3aee, v31
	v_add_f16_e32 v5, v27, v5
	v_add_f16_e32 v6, v6, v7
	v_mul_u32_u24_e32 v7, 12, v45
	v_add_f16_e32 v30, v31, v30
	v_sub_f16_e32 v4, v4, v29
	v_add_f16_e32 v5, v28, v5
	v_add_f16_e32 v6, v26, v6
	v_or_b32_e32 v7, v7, v42
	v_lshlrev_b32_e32 v7, 2, v7
	v_pack_b32_f16 v5, v6, v5
	v_pack_b32_f16 v4, v4, v30
	s_mov_b32 s6, 0x5040100
	ds_write2_b32 v7, v5, v4 offset1:4
	v_perm_b32 v4, v19, v18, s6
	ds_write_b32 v7, v4 offset:32
.LBB0_13:
	s_or_b64 exec, exec, s[2:3]
	s_waitcnt lgkmcnt(0)
	s_barrier
	ds_read2_b32 v[4:5], v41 offset1:144
	v_add_u32_e32 v6, 0x400, v41
	ds_read2_b32 v[6:7], v6 offset0:32 offset1:176
	v_add_u32_e32 v26, 0x800, v41
	ds_read2_b32 v[26:27], v26 offset0:64 offset1:208
	s_waitcnt lgkmcnt(2)
	v_lshrrev_b32_e32 v31, 16, v5
	v_mul_f16_sdwa v53, v0, v31 dst_sel:DWORD dst_unused:UNUSED_PAD src0_sel:WORD_1 src1_sel:DWORD
	s_waitcnt lgkmcnt(1)
	v_lshrrev_b32_e32 v43, 16, v6
	v_fma_f16 v53, v0, v5, v53
	v_mul_f16_sdwa v5, v0, v5 dst_sel:DWORD dst_unused:UNUSED_PAD src0_sel:WORD_1 src1_sel:DWORD
	v_fma_f16 v0, v0, v31, -v5
	v_mul_f16_sdwa v5, v1, v43 dst_sel:DWORD dst_unused:UNUSED_PAD src0_sel:WORD_1 src1_sel:DWORD
	v_add_u32_e32 v42, 0xc00, v41
	v_lshrrev_b32_e32 v44, 16, v7
	v_fma_f16 v5, v1, v6, v5
	v_mul_f16_sdwa v6, v1, v6 dst_sel:DWORD dst_unused:UNUSED_PAD src0_sel:WORD_1 src1_sel:DWORD
	ds_read2_b32 v[28:29], v42 offset0:96 offset1:240
	v_fma_f16 v1, v1, v43, -v6
	v_mul_f16_sdwa v6, v2, v44 dst_sel:DWORD dst_unused:UNUSED_PAD src0_sel:WORD_1 src1_sel:DWORD
	s_waitcnt lgkmcnt(1)
	v_lshrrev_b32_e32 v45, 16, v26
	v_fma_f16 v6, v2, v7, v6
	v_mul_f16_sdwa v7, v2, v7 dst_sel:DWORD dst_unused:UNUSED_PAD src0_sel:WORD_1 src1_sel:DWORD
	v_fma_f16 v2, v2, v44, -v7
	v_mul_f16_sdwa v7, v3, v45 dst_sel:DWORD dst_unused:UNUSED_PAD src0_sel:WORD_1 src1_sel:DWORD
	v_lshrrev_b32_e32 v50, 16, v27
	v_fma_f16 v7, v3, v26, v7
	v_mul_f16_sdwa v26, v3, v26 dst_sel:DWORD dst_unused:UNUSED_PAD src0_sel:WORD_1 src1_sel:DWORD
	v_fma_f16 v3, v3, v45, -v26
	v_mul_f16_sdwa v26, v8, v50 dst_sel:DWORD dst_unused:UNUSED_PAD src0_sel:WORD_1 src1_sel:DWORD
	s_waitcnt lgkmcnt(0)
	v_lshrrev_b32_e32 v51, 16, v28
	v_fma_f16 v26, v8, v27, v26
	v_mul_f16_sdwa v27, v8, v27 dst_sel:DWORD dst_unused:UNUSED_PAD src0_sel:WORD_1 src1_sel:DWORD
	v_fma_f16 v8, v8, v50, -v27
	v_mul_f16_sdwa v27, v9, v51 dst_sel:DWORD dst_unused:UNUSED_PAD src0_sel:WORD_1 src1_sel:DWORD
	v_lshrrev_b32_e32 v52, 16, v29
	v_fma_f16 v27, v9, v28, v27
	v_mul_f16_sdwa v28, v9, v28 dst_sel:DWORD dst_unused:UNUSED_PAD src0_sel:WORD_1 src1_sel:DWORD
	v_fma_f16 v9, v9, v51, -v28
	v_mul_f16_sdwa v28, v10, v52 dst_sel:DWORD dst_unused:UNUSED_PAD src0_sel:WORD_1 src1_sel:DWORD
	v_fma_f16 v28, v10, v29, v28
	v_mul_f16_sdwa v29, v10, v29 dst_sel:DWORD dst_unused:UNUSED_PAD src0_sel:WORD_1 src1_sel:DWORD
	v_lshrrev_b32_e32 v30, 16, v4
	v_fma_f16 v10, v10, v52, -v29
	v_sub_f16_e32 v3, v30, v3
	v_sub_f16_e32 v9, v1, v9
	;; [unrolled: 1-line block ×5, first 2 shown]
	v_fma_f16 v29, v30, 2.0, -v3
	v_sub_f16_e32 v27, v5, v27
	v_fma_f16 v1, v1, 2.0, -v9
	v_sub_f16_e32 v26, v53, v26
	v_fma_f16 v0, v0, 2.0, -v8
	v_sub_f16_e32 v28, v6, v28
	v_fma_f16 v2, v2, 2.0, -v10
	v_fma_f16 v4, v4, 2.0, -v7
	;; [unrolled: 1-line block ×5, first 2 shown]
	v_sub_f16_e32 v1, v29, v1
	v_add_f16_e32 v31, v7, v9
	v_sub_f16_e32 v2, v0, v2
	v_add_f16_e32 v10, v26, v10
	v_sub_f16_e32 v5, v4, v5
	v_fma_f16 v29, v29, 2.0, -v1
	v_sub_f16_e32 v27, v3, v27
	v_fma_f16 v7, v7, 2.0, -v31
	;; [unrolled: 2-line block ×4, first 2 shown]
	s_mov_b32 s2, 0xb9a8
	v_fma_f16 v4, v4, 2.0, -v5
	v_fma_f16 v3, v3, 2.0, -v27
	;; [unrolled: 1-line block ×4, first 2 shown]
	v_sub_f16_e32 v43, v29, v0
	v_fma_f16 v0, v26, s2, v7
	s_movk_i32 s3, 0x39a8
	v_sub_f16_e32 v30, v4, v9
	v_fma_f16 v9, v8, s2, v3
	v_fma_f16 v44, v8, s3, v0
	v_add_f16_e32 v0, v5, v2
	v_sub_f16_e32 v8, v1, v6
	v_fma_f16 v26, v26, s2, v9
	v_fma_f16 v2, v5, 2.0, -v0
	v_fma_f16 v5, v1, 2.0, -v8
	v_fma_f16 v1, v10, s3, v31
	v_fma_f16 v6, v28, s3, v27
	v_fma_f16 v4, v4, 2.0, -v30
	v_fma_f16 v29, v29, 2.0, -v43
	;; [unrolled: 1-line block ×4, first 2 shown]
	v_fma_f16 v1, v28, s3, v1
	v_fma_f16 v9, v10, s2, v6
	v_fma_f16 v6, v31, 2.0, -v1
	v_fma_f16 v10, v27, 2.0, -v9
	v_pack_b32_f16 v4, v4, v29
	v_pack_b32_f16 v3, v7, v3
	s_barrier
	ds_write2_b32 v46, v4, v3 offset1:12
	v_pack_b32_f16 v2, v2, v5
	v_pack_b32_f16 v3, v6, v10
	ds_write2_b32 v46, v2, v3 offset0:24 offset1:36
	v_pack_b32_f16 v2, v30, v43
	v_pack_b32_f16 v3, v44, v26
	ds_write2_b32 v46, v2, v3 offset0:48 offset1:60
	v_pack_b32_f16 v2, v0, v8
	v_pack_b32_f16 v3, v1, v9
	v_add_u32_e32 v4, 0x600, v41
	ds_write2_b32 v46, v2, v3 offset0:72 offset1:84
	s_waitcnt lgkmcnt(0)
	s_barrier
	ds_read2_b32 v[2:3], v41 offset1:144
	ds_read2_b32 v[6:7], v4 offset1:144
	;; [unrolled: 1-line block ×3, first 2 shown]
	s_and_saveexec_b64 s[2:3], s[0:1]
	s_cbranch_execz .LBB0_15
; %bb.14:
	v_add_u32_e32 v0, 0x80, v41
	ds_read2st64_b32 v[0:1], v0 offset0:4 offset1:10
	ds_read_b32 v18, v41 offset:4224
	s_waitcnt lgkmcnt(1)
	v_lshrrev_b32_e32 v8, 16, v0
	v_lshrrev_b32_e32 v9, 16, v1
	s_waitcnt lgkmcnt(0)
	v_lshrrev_b32_e32 v19, 16, v18
.LBB0_15:
	s_or_b64 exec, exec, s[2:3]
	s_waitcnt lgkmcnt(1)
	v_lshrrev_b32_e32 v26, 16, v6
	v_mul_f16_sdwa v31, v22, v26 dst_sel:DWORD dst_unused:UNUSED_PAD src0_sel:WORD_1 src1_sel:DWORD
	s_waitcnt lgkmcnt(0)
	v_lshrrev_b32_e32 v27, 16, v4
	v_fma_f16 v31, v22, v6, v31
	v_mul_f16_sdwa v6, v22, v6 dst_sel:DWORD dst_unused:UNUSED_PAD src0_sel:WORD_1 src1_sel:DWORD
	v_fma_f16 v6, v22, v26, -v6
	v_mul_f16_sdwa v22, v23, v27 dst_sel:DWORD dst_unused:UNUSED_PAD src0_sel:WORD_1 src1_sel:DWORD
	v_lshrrev_b32_e32 v29, 16, v7
	v_fma_f16 v22, v23, v4, v22
	v_mul_f16_sdwa v4, v23, v4 dst_sel:DWORD dst_unused:UNUSED_PAD src0_sel:WORD_1 src1_sel:DWORD
	v_fma_f16 v4, v23, v27, -v4
	v_mul_f16_sdwa v23, v24, v29 dst_sel:DWORD dst_unused:UNUSED_PAD src0_sel:WORD_1 src1_sel:DWORD
	;; [unrolled: 5-line block ×3, first 2 shown]
	v_fma_f16 v24, v25, v5, v24
	v_mul_f16_sdwa v5, v25, v5 dst_sel:DWORD dst_unused:UNUSED_PAD src0_sel:WORD_1 src1_sel:DWORD
	v_add_f16_e32 v26, v31, v22
	v_lshrrev_b32_e32 v10, 16, v2
	v_fma_f16 v5, v25, v30, -v5
	v_add_f16_e32 v25, v2, v31
	v_fma_f16 v2, v26, -0.5, v2
	v_sub_f16_e32 v26, v6, v4
	s_mov_b32 s6, 0xbaee
	s_movk_i32 s7, 0x3aee
	v_fma_f16 v27, v26, s6, v2
	v_fma_f16 v2, v26, s7, v2
	v_add_f16_e32 v26, v10, v6
	v_add_f16_e32 v26, v26, v4
	;; [unrolled: 1-line block ×4, first 2 shown]
	v_fma_f16 v4, v4, -0.5, v10
	v_sub_f16_e32 v6, v31, v22
	v_add_f16_e32 v22, v23, v24
	v_lshrrev_b32_e32 v28, 16, v3
	v_fma_f16 v10, v6, s7, v4
	v_fma_f16 v4, v6, s6, v4
	v_add_f16_e32 v6, v3, v23
	v_fma_f16 v3, v22, -0.5, v3
	v_sub_f16_e32 v22, v7, v5
	v_fma_f16 v29, v22, s6, v3
	v_fma_f16 v3, v22, s7, v3
	v_add_f16_e32 v22, v28, v7
	v_add_f16_e32 v22, v22, v5
	;; [unrolled: 1-line block ×3, first 2 shown]
	v_fma_f16 v5, v5, -0.5, v28
	v_sub_f16_e32 v7, v23, v24
	v_add_f16_e32 v6, v6, v24
	v_fma_f16 v23, v7, s7, v5
	v_pack_b32_f16 v2, v2, v4
	v_fma_f16 v5, v7, s6, v5
	s_barrier
	v_pack_b32_f16 v7, v25, v26
	v_pack_b32_f16 v10, v27, v10
	ds_write_b32 v48, v2 offset:768
	v_pack_b32_f16 v2, v6, v22
	v_pack_b32_f16 v4, v29, v23
	ds_write2_b32 v48, v7, v10 offset1:96
	ds_write2_b32 v49, v2, v4 offset1:96
	v_pack_b32_f16 v2, v3, v5
	ds_write_b32 v49, v2 offset:768
	s_and_saveexec_b64 s[2:3], s[0:1]
	s_cbranch_execz .LBB0_17
; %bb.16:
	v_mul_f16_sdwa v2, v20, v9 dst_sel:DWORD dst_unused:UNUSED_PAD src0_sel:WORD_1 src1_sel:DWORD
	v_fma_f16 v2, v20, v1, v2
	v_mul_f16_sdwa v3, v21, v19 dst_sel:DWORD dst_unused:UNUSED_PAD src0_sel:WORD_1 src1_sel:DWORD
	v_mul_f16_sdwa v1, v20, v1 dst_sel:DWORD dst_unused:UNUSED_PAD src0_sel:WORD_1 src1_sel:DWORD
	;; [unrolled: 1-line block ×3, first 2 shown]
	v_fma_f16 v3, v21, v18, v3
	v_fma_f16 v1, v20, v9, -v1
	v_fma_f16 v5, v21, v19, -v5
	v_add_f16_e32 v6, v5, v1
	v_add_f16_e32 v9, v3, v2
	v_sub_f16_e32 v4, v2, v3
	v_fma_f16 v6, v6, -0.5, v8
	v_fma_f16 v9, v9, -0.5, v0
	v_sub_f16_e32 v10, v1, v5
	v_add_f16_e32 v1, v1, v8
	v_add_f16_e32 v0, v0, v2
	v_fma_f16 v7, v4, s7, v6
	v_fma_f16 v18, v10, s6, v9
	v_add_f16_e32 v1, v5, v1
	v_add_f16_e32 v0, v3, v0
	v_fma_f16 v2, v4, s6, v6
	v_fma_f16 v3, v10, s7, v9
	v_pack_b32_f16 v0, v0, v1
	v_pack_b32_f16 v1, v18, v7
	v_add_u32_e32 v4, 0xc00, v47
	ds_write2_b32 v4, v0, v1 offset0:96 offset1:192
	v_pack_b32_f16 v0, v3, v2
	ds_write_b32 v47, v0 offset:4224
.LBB0_17:
	s_or_b64 exec, exec, s[2:3]
	v_add_u32_e32 v10, 0x400, v41
	s_waitcnt lgkmcnt(0)
	s_barrier
	ds_read2_b32 v[2:3], v10 offset0:32 offset1:176
	v_add_u32_e32 v18, 0x800, v41
	ds_read2_b32 v[4:5], v18 offset0:64 offset1:208
	v_add_u32_e32 v19, 0xc00, v41
	ds_read2_b32 v[6:7], v19 offset0:96 offset1:240
	s_waitcnt lgkmcnt(2)
	v_lshrrev_b32_e32 v9, 16, v2
	v_mul_f16_sdwa v26, v11, v9 dst_sel:DWORD dst_unused:UNUSED_PAD src0_sel:WORD_1 src1_sel:DWORD
	s_waitcnt lgkmcnt(1)
	v_lshrrev_b32_e32 v20, 16, v4
	v_fma_f16 v26, v11, v2, v26
	v_mul_f16_sdwa v2, v11, v2 dst_sel:DWORD dst_unused:UNUSED_PAD src0_sel:WORD_1 src1_sel:DWORD
	v_fma_f16 v2, v11, v9, -v2
	v_mul_f16_sdwa v9, v12, v20 dst_sel:DWORD dst_unused:UNUSED_PAD src0_sel:WORD_1 src1_sel:DWORD
	ds_read2_b32 v[0:1], v41 offset1:144
	s_waitcnt lgkmcnt(1)
	v_lshrrev_b32_e32 v21, 16, v6
	v_lshrrev_b32_e32 v23, 16, v3
	v_fma_f16 v9, v12, v4, v9
	v_mul_f16_sdwa v4, v12, v4 dst_sel:DWORD dst_unused:UNUSED_PAD src0_sel:WORD_1 src1_sel:DWORD
	v_fma_f16 v4, v12, v20, -v4
	v_mul_f16_sdwa v11, v13, v21 dst_sel:DWORD dst_unused:UNUSED_PAD src0_sel:WORD_1 src1_sel:DWORD
	v_mul_f16_sdwa v12, v14, v23 dst_sel:DWORD dst_unused:UNUSED_PAD src0_sel:WORD_1 src1_sel:DWORD
	v_lshrrev_b32_e32 v24, 16, v5
	v_lshrrev_b32_e32 v25, 16, v7
	v_fma_f16 v11, v13, v6, v11
	v_mul_f16_sdwa v6, v13, v6 dst_sel:DWORD dst_unused:UNUSED_PAD src0_sel:WORD_1 src1_sel:DWORD
	v_fma_f16 v12, v14, v3, v12
	v_mul_f16_sdwa v3, v14, v3 dst_sel:DWORD dst_unused:UNUSED_PAD src0_sel:WORD_1 src1_sel:DWORD
	v_fma_f16 v6, v13, v21, -v6
	v_fma_f16 v3, v14, v23, -v3
	v_mul_f16_sdwa v13, v15, v24 dst_sel:DWORD dst_unused:UNUSED_PAD src0_sel:WORD_1 src1_sel:DWORD
	v_mul_f16_sdwa v14, v16, v25 dst_sel:DWORD dst_unused:UNUSED_PAD src0_sel:WORD_1 src1_sel:DWORD
	v_fma_f16 v13, v15, v5, v13
	v_mul_f16_sdwa v5, v15, v5 dst_sel:DWORD dst_unused:UNUSED_PAD src0_sel:WORD_1 src1_sel:DWORD
	v_fma_f16 v14, v16, v7, v14
	v_mul_f16_sdwa v7, v16, v7 dst_sel:DWORD dst_unused:UNUSED_PAD src0_sel:WORD_1 src1_sel:DWORD
	s_waitcnt lgkmcnt(0)
	v_lshrrev_b32_e32 v8, 16, v0
	v_lshrrev_b32_e32 v22, 16, v1
	v_fma_f16 v5, v15, v24, -v5
	v_fma_f16 v7, v16, v25, -v7
	v_sub_f16_e32 v9, v0, v9
	v_sub_f16_e32 v4, v8, v4
	v_sub_f16_e32 v11, v26, v11
	v_sub_f16_e32 v6, v2, v6
	v_sub_f16_e32 v13, v1, v13
	v_sub_f16_e32 v5, v22, v5
	v_sub_f16_e32 v14, v12, v14
	v_sub_f16_e32 v7, v3, v7
	v_fma_f16 v0, v0, 2.0, -v9
	v_fma_f16 v8, v8, 2.0, -v4
	v_fma_f16 v15, v26, 2.0, -v11
	v_fma_f16 v2, v2, 2.0, -v6
	v_fma_f16 v1, v1, 2.0, -v13
	v_fma_f16 v16, v22, 2.0, -v5
	v_fma_f16 v12, v12, 2.0, -v14
	v_fma_f16 v3, v3, 2.0, -v7
	v_sub_f16_e32 v15, v0, v15
	v_sub_f16_e32 v2, v8, v2
	v_add_f16_e32 v6, v9, v6
	v_sub_f16_e32 v11, v4, v11
	v_sub_f16_e32 v12, v1, v12
	;; [unrolled: 1-line block ×3, first 2 shown]
	v_fma_f16 v0, v0, 2.0, -v15
	v_fma_f16 v8, v8, 2.0, -v2
	;; [unrolled: 1-line block ×6, first 2 shown]
	v_add_f16_e32 v7, v13, v7
	v_sub_f16_e32 v14, v5, v14
	v_pack_b32_f16 v2, v15, v2
	v_fma_f16 v13, v13, 2.0, -v7
	v_fma_f16 v5, v5, 2.0, -v14
	v_pack_b32_f16 v0, v0, v8
	v_pack_b32_f16 v4, v9, v4
	ds_write_b32 v41, v2 offset:2304
	v_pack_b32_f16 v2, v6, v11
	v_pack_b32_f16 v1, v1, v16
	ds_write_b32 v41, v4 offset:1152
	ds_write_b32 v41, v2 offset:3456
	ds_write2_b32 v41, v0, v1 offset1:144
	v_pack_b32_f16 v0, v13, v5
	ds_write_b32 v41, v0 offset:1728
	v_pack_b32_f16 v0, v12, v3
	ds_write_b32 v41, v0 offset:2880
	;; [unrolled: 2-line block ×3, first 2 shown]
	s_waitcnt lgkmcnt(0)
	s_barrier
	ds_read2_b32 v[0:1], v41 offset1:144
	s_mov_b32 s2, 0x1c71c71c
	s_mov_b32 s3, 0x3f4c71c7
	v_mad_u64_u32 v[4:5], s[0:1], s10, v17, 0
	s_waitcnt lgkmcnt(0)
	v_lshrrev_b32_e32 v7, 16, v0
	v_mul_f16_sdwa v2, v40, v7 dst_sel:DWORD dst_unused:UNUSED_PAD src0_sel:WORD_1 src1_sel:DWORD
	v_fma_f16 v2, v40, v0, v2
	v_cvt_f32_f16_e32 v2, v2
	s_movk_i32 s6, 0x1ff
	v_mad_u64_u32 v[5:6], s[0:1], s11, v17, v[5:6]
	v_cvt_f64_f32_e32 v[2:3], v2
	s_movk_i32 s7, 0xffe
	v_mul_f16_sdwa v0, v40, v0 dst_sel:DWORD dst_unused:UNUSED_PAD src0_sel:WORD_1 src1_sel:DWORD
	v_fma_f16 v0, v40, v7, -v0
	v_mul_f64 v[2:3], v[2:3], s[2:3]
	v_cvt_f32_f16_e32 v7, v0
	v_mov_b32_e32 v0, 0x7c00
	s_movk_i32 s10, 0x40f
	s_mov_b32 s11, 0x8000
	v_lshlrev_b64 v[4:5], 2, v[4:5]
	v_and_or_b32 v2, v3, s6, v2
	v_cmp_ne_u32_e32 vcc, 0, v2
	v_cndmask_b32_e64 v2, 0, 1, vcc
	v_lshrrev_b32_e32 v6, 8, v3
	v_bfe_u32 v8, v3, 20, 11
	v_and_or_b32 v2, v6, s7, v2
	v_sub_u32_e32 v9, 0x3f1, v8
	v_or_b32_e32 v6, 0x1000, v2
	v_med3_i32 v9, v9, 0, 13
	v_lshrrev_b32_e32 v11, v9, v6
	v_lshlrev_b32_e32 v9, v9, v11
	v_cmp_ne_u32_e32 vcc, v9, v6
	v_cndmask_b32_e64 v6, 0, 1, vcc
	v_add_u32_e32 v8, 0xfffffc10, v8
	v_or_b32_e32 v6, v11, v6
	v_lshl_or_b32 v9, v8, 12, v2
	v_cmp_gt_i32_e32 vcc, 1, v8
	v_cndmask_b32_e32 v6, v9, v6, vcc
	v_and_b32_e32 v9, 7, v6
	v_cmp_lt_i32_e32 vcc, 5, v9
	v_cmp_eq_u32_e64 s[0:1], 3, v9
	v_lshrrev_b32_e32 v6, 2, v6
	s_or_b64 vcc, s[0:1], vcc
	v_addc_co_u32_e32 v9, vcc, 0, v6, vcc
	v_cvt_f64_f32_e32 v[6:7], v7
	v_cmp_gt_i32_e32 vcc, 31, v8
	v_cndmask_b32_e32 v9, v0, v9, vcc
	v_cmp_ne_u32_e32 vcc, 0, v2
	v_mul_f64 v[6:7], v[6:7], s[2:3]
	v_cndmask_b32_e64 v2, 0, 1, vcc
	v_lshl_or_b32 v2, v2, 9, v0
	v_cmp_eq_u32_e32 vcc, s10, v8
	v_cndmask_b32_e32 v2, v9, v2, vcc
	v_lshrrev_b32_e32 v3, 16, v3
	v_and_or_b32 v11, v3, s11, v2
	v_and_b32_e32 v11, 0xffff, v11
	v_and_or_b32 v2, v7, s6, v6
	v_cmp_ne_u32_e32 vcc, 0, v2
	v_cndmask_b32_e64 v2, 0, 1, vcc
	v_lshrrev_b32_e32 v3, 8, v7
	v_bfe_u32 v6, v7, 20, 11
	v_and_or_b32 v2, v3, s7, v2
	v_sub_u32_e32 v8, 0x3f1, v6
	v_or_b32_e32 v3, 0x1000, v2
	v_med3_i32 v8, v8, 0, 13
	v_lshrrev_b32_e32 v9, v8, v3
	v_lshlrev_b32_e32 v8, v8, v9
	v_cmp_ne_u32_e32 vcc, v8, v3
	v_cndmask_b32_e64 v3, 0, 1, vcc
	v_add_u32_e32 v6, 0xfffffc10, v6
	v_or_b32_e32 v3, v9, v3
	v_lshl_or_b32 v8, v6, 12, v2
	v_cmp_gt_i32_e32 vcc, 1, v6
	v_cndmask_b32_e32 v3, v8, v3, vcc
	v_and_b32_e32 v8, 7, v3
	v_cmp_lt_i32_e32 vcc, 5, v8
	v_cmp_eq_u32_e64 s[0:1], 3, v8
	v_lshrrev_b32_e32 v3, 2, v3
	s_or_b64 vcc, s[0:1], vcc
	v_addc_co_u32_e32 v3, vcc, 0, v3, vcc
	v_cmp_gt_i32_e32 vcc, 31, v6
	v_cndmask_b32_e32 v3, v0, v3, vcc
	v_cmp_ne_u32_e32 vcc, 0, v2
	v_cndmask_b32_e64 v2, 0, 1, vcc
	v_lshl_or_b32 v2, v2, 9, v0
	v_cmp_eq_u32_e32 vcc, s10, v6
	v_mad_u64_u32 v[8:9], s[0:1], s8, v38, 0
	v_cndmask_b32_e32 v12, v3, v2, vcc
	ds_read2_b32 v[2:3], v10 offset0:32 offset1:176
	v_mov_b32_e32 v6, v9
	v_lshrrev_b32_e32 v10, 16, v7
	v_mad_u64_u32 v[6:7], s[0:1], s9, v38, v[6:7]
	s_waitcnt lgkmcnt(0)
	v_lshrrev_b32_e32 v13, 16, v2
	v_mul_f16_sdwa v7, v37, v13 dst_sel:DWORD dst_unused:UNUSED_PAD src0_sel:WORD_1 src1_sel:DWORD
	v_fma_f16 v7, v37, v2, v7
	v_cvt_f32_f16_e32 v7, v7
	v_mov_b32_e32 v9, v6
	v_and_or_b32 v10, v10, s11, v12
	v_lshl_or_b32 v10, v10, 16, v11
	v_cvt_f64_f32_e32 v[6:7], v7
	v_mov_b32_e32 v11, s5
	v_add_co_u32_e32 v12, vcc, s4, v4
	v_mul_f64 v[6:7], v[6:7], s[2:3]
	v_addc_co_u32_e32 v11, vcc, v11, v5, vcc
	v_lshlrev_b64 v[4:5], 2, v[8:9]
	v_mul_f16_sdwa v2, v37, v2 dst_sel:DWORD dst_unused:UNUSED_PAD src0_sel:WORD_1 src1_sel:DWORD
	v_add_co_u32_e32 v8, vcc, v12, v4
	v_addc_co_u32_e32 v9, vcc, v11, v5, vcc
	v_and_or_b32 v4, v7, s6, v6
	v_cmp_ne_u32_e32 vcc, 0, v4
	v_cndmask_b32_e64 v4, 0, 1, vcc
	v_lshrrev_b32_e32 v5, 8, v7
	global_store_dword v[8:9], v10, off
	v_and_or_b32 v10, v5, s7, v4
	v_bfe_u32 v5, v7, 20, 11
	v_sub_u32_e32 v6, 0x3f1, v5
	v_or_b32_e32 v4, 0x1000, v10
	v_med3_i32 v6, v6, 0, 13
	v_lshrrev_b32_e32 v11, v6, v4
	v_lshlrev_b32_e32 v6, v6, v11
	v_cmp_ne_u32_e32 vcc, v6, v4
	v_cndmask_b32_e64 v4, 0, 1, vcc
	v_fma_f16 v2, v37, v13, -v2
	v_or_b32_e32 v4, v11, v4
	v_add_u32_e32 v11, 0xfffffc10, v5
	v_cvt_f32_f16_e32 v2, v2
	v_lshl_or_b32 v5, v11, 12, v10
	v_cmp_gt_i32_e32 vcc, 1, v11
	v_cndmask_b32_e32 v4, v5, v4, vcc
	v_and_b32_e32 v5, 7, v4
	v_cmp_lt_i32_e32 vcc, 5, v5
	v_cmp_eq_u32_e64 s[0:1], 3, v5
	v_lshrrev_b32_e32 v6, 2, v4
	v_cvt_f64_f32_e32 v[4:5], v2
	s_or_b64 vcc, s[0:1], vcc
	v_addc_co_u32_e32 v2, vcc, 0, v6, vcc
	v_mul_f64 v[5:6], v[4:5], s[2:3]
	v_cmp_gt_i32_e32 vcc, 31, v11
	v_cndmask_b32_e32 v2, v0, v2, vcc
	v_cmp_ne_u32_e32 vcc, 0, v10
	v_cndmask_b32_e64 v4, 0, 1, vcc
	v_lshl_or_b32 v4, v4, 9, v0
	v_cmp_eq_u32_e32 vcc, s10, v11
	v_cndmask_b32_e32 v2, v2, v4, vcc
	v_lshrrev_b32_e32 v4, 16, v7
	v_and_or_b32 v2, v4, s11, v2
	v_and_or_b32 v4, v6, s6, v5
	v_cmp_ne_u32_e32 vcc, 0, v4
	v_cndmask_b32_e64 v4, 0, 1, vcc
	v_lshrrev_b32_e32 v5, 8, v6
	v_bfe_u32 v7, v6, 20, 11
	v_and_or_b32 v4, v5, s7, v4
	v_sub_u32_e32 v10, 0x3f1, v7
	v_or_b32_e32 v5, 0x1000, v4
	v_med3_i32 v10, v10, 0, 13
	v_lshrrev_b32_e32 v11, v10, v5
	v_lshlrev_b32_e32 v10, v10, v11
	v_cmp_ne_u32_e32 vcc, v10, v5
	v_cndmask_b32_e64 v5, 0, 1, vcc
	v_add_u32_e32 v7, 0xfffffc10, v7
	v_or_b32_e32 v5, v11, v5
	v_lshl_or_b32 v10, v7, 12, v4
	v_cmp_gt_i32_e32 vcc, 1, v7
	v_cndmask_b32_e32 v5, v10, v5, vcc
	v_and_b32_e32 v10, 7, v5
	v_cmp_lt_i32_e32 vcc, 5, v10
	v_cmp_eq_u32_e64 s[0:1], 3, v10
	v_lshrrev_b32_e32 v5, 2, v5
	s_or_b64 vcc, s[0:1], vcc
	v_addc_co_u32_e32 v5, vcc, 0, v5, vcc
	v_cmp_gt_i32_e32 vcc, 31, v7
	v_cndmask_b32_e32 v10, v0, v5, vcc
	v_cmp_ne_u32_e32 vcc, 0, v4
	ds_read2_b32 v[4:5], v18 offset0:64 offset1:208
	v_cndmask_b32_e64 v11, 0, 1, vcc
	v_lshl_or_b32 v11, v11, 9, v0
	v_cmp_eq_u32_e32 vcc, s10, v7
	v_cndmask_b32_e32 v7, v10, v11, vcc
	s_waitcnt lgkmcnt(0)
	v_lshrrev_b32_e32 v10, 16, v4
	v_mul_f16_sdwa v11, v39, v10 dst_sel:DWORD dst_unused:UNUSED_PAD src0_sel:WORD_1 src1_sel:DWORD
	v_fma_f16 v11, v39, v4, v11
	v_cvt_f32_f16_e32 v11, v11
	v_lshrrev_b32_e32 v6, 16, v6
	v_and_or_b32 v6, v6, s11, v7
	v_and_b32_e32 v2, 0xffff, v2
	v_lshl_or_b32 v2, v6, 16, v2
	v_cvt_f64_f32_e32 v[6:7], v11
	s_mul_i32 s0, s9, 0x480
	s_mul_hi_u32 s4, s8, 0x480
	s_add_i32 s4, s4, s0
	v_mul_f64 v[6:7], v[6:7], s[2:3]
	s_mul_i32 s5, s8, 0x480
	v_mov_b32_e32 v11, s4
	v_add_co_u32_e32 v8, vcc, s5, v8
	v_addc_co_u32_e32 v9, vcc, v9, v11, vcc
	global_store_dword v[8:9], v2, off
	v_and_or_b32 v2, v7, s6, v6
	v_cmp_ne_u32_e32 vcc, 0, v2
	v_cndmask_b32_e64 v2, 0, 1, vcc
	v_lshrrev_b32_e32 v6, 8, v7
	v_bfe_u32 v11, v7, 20, 11
	v_and_or_b32 v2, v6, s7, v2
	v_sub_u32_e32 v12, 0x3f1, v11
	v_or_b32_e32 v6, 0x1000, v2
	v_med3_i32 v12, v12, 0, 13
	v_lshrrev_b32_e32 v13, v12, v6
	v_lshlrev_b32_e32 v12, v12, v13
	v_mul_f16_sdwa v4, v39, v4 dst_sel:DWORD dst_unused:UNUSED_PAD src0_sel:WORD_1 src1_sel:DWORD
	v_cmp_ne_u32_e32 vcc, v12, v6
	v_fma_f16 v4, v39, v10, -v4
	v_cndmask_b32_e64 v6, 0, 1, vcc
	v_add_u32_e32 v12, 0xfffffc10, v11
	v_cvt_f32_f16_e32 v4, v4
	v_or_b32_e32 v6, v13, v6
	v_lshl_or_b32 v11, v12, 12, v2
	v_cmp_gt_i32_e32 vcc, 1, v12
	v_cndmask_b32_e32 v6, v11, v6, vcc
	v_and_b32_e32 v11, 7, v6
	v_cmp_lt_i32_e32 vcc, 5, v11
	v_cmp_eq_u32_e64 s[0:1], 3, v11
	v_cvt_f64_f32_e32 v[10:11], v4
	v_lshrrev_b32_e32 v6, 2, v6
	s_or_b64 vcc, s[0:1], vcc
	v_addc_co_u32_e32 v4, vcc, 0, v6, vcc
	v_mul_f64 v[10:11], v[10:11], s[2:3]
	v_cmp_gt_i32_e32 vcc, 31, v12
	v_cndmask_b32_e32 v4, v0, v4, vcc
	v_cmp_ne_u32_e32 vcc, 0, v2
	v_cndmask_b32_e64 v2, 0, 1, vcc
	v_lshl_or_b32 v2, v2, 9, v0
	v_cmp_eq_u32_e32 vcc, s10, v12
	v_cndmask_b32_e32 v2, v4, v2, vcc
	v_lshrrev_b32_e32 v4, 16, v7
	v_and_or_b32 v2, v4, s11, v2
	v_and_or_b32 v4, v11, s6, v10
	v_cmp_ne_u32_e32 vcc, 0, v4
	v_cndmask_b32_e64 v4, 0, 1, vcc
	v_lshrrev_b32_e32 v6, 8, v11
	v_bfe_u32 v7, v11, 20, 11
	v_and_or_b32 v4, v6, s7, v4
	v_sub_u32_e32 v10, 0x3f1, v7
	v_or_b32_e32 v6, 0x1000, v4
	v_med3_i32 v10, v10, 0, 13
	v_lshrrev_b32_e32 v12, v10, v6
	v_lshlrev_b32_e32 v10, v10, v12
	v_cmp_ne_u32_e32 vcc, v10, v6
	v_cndmask_b32_e64 v6, 0, 1, vcc
	v_add_u32_e32 v10, 0xfffffc10, v7
	v_or_b32_e32 v6, v12, v6
	v_lshl_or_b32 v7, v10, 12, v4
	v_cmp_gt_i32_e32 vcc, 1, v10
	v_cndmask_b32_e32 v6, v7, v6, vcc
	v_and_b32_e32 v7, 7, v6
	v_cmp_lt_i32_e32 vcc, 5, v7
	v_cmp_eq_u32_e64 s[0:1], 3, v7
	v_lshrrev_b32_e32 v6, 2, v6
	s_or_b64 vcc, s[0:1], vcc
	v_addc_co_u32_e32 v12, vcc, 0, v6, vcc
	ds_read2_b32 v[6:7], v19 offset0:96 offset1:240
	v_cmp_gt_i32_e32 vcc, 31, v10
	v_cndmask_b32_e32 v12, v0, v12, vcc
	v_cmp_ne_u32_e32 vcc, 0, v4
	v_cndmask_b32_e64 v4, 0, 1, vcc
	s_waitcnt lgkmcnt(0)
	v_lshrrev_b32_e32 v14, 16, v6
	v_mul_f16_sdwa v13, v36, v14 dst_sel:DWORD dst_unused:UNUSED_PAD src0_sel:WORD_1 src1_sel:DWORD
	v_fma_f16 v13, v36, v6, v13
	v_cvt_f32_f16_e32 v13, v13
	v_lshl_or_b32 v4, v4, 9, v0
	v_cmp_eq_u32_e32 vcc, s10, v10
	v_cndmask_b32_e32 v4, v12, v4, vcc
	v_cvt_f64_f32_e32 v[12:13], v13
	v_lshrrev_b32_e32 v10, 16, v11
	v_and_or_b32 v4, v10, s11, v4
	v_and_b32_e32 v2, 0xffff, v2
	v_mul_f64 v[10:11], v[12:13], s[2:3]
	v_lshl_or_b32 v2, v4, 16, v2
	v_mov_b32_e32 v4, s4
	v_add_co_u32_e32 v8, vcc, s5, v8
	v_addc_co_u32_e32 v9, vcc, v9, v4, vcc
	global_store_dword v[8:9], v2, off
	v_and_or_b32 v2, v11, s6, v10
	v_cmp_ne_u32_e32 vcc, 0, v2
	v_cndmask_b32_e64 v2, 0, 1, vcc
	v_lshrrev_b32_e32 v4, 8, v11
	v_bfe_u32 v10, v11, 20, 11
	v_and_or_b32 v2, v4, s7, v2
	v_sub_u32_e32 v12, 0x3f1, v10
	v_or_b32_e32 v4, 0x1000, v2
	v_med3_i32 v12, v12, 0, 13
	v_lshrrev_b32_e32 v13, v12, v4
	v_lshlrev_b32_e32 v12, v12, v13
	v_mul_f16_sdwa v6, v36, v6 dst_sel:DWORD dst_unused:UNUSED_PAD src0_sel:WORD_1 src1_sel:DWORD
	v_cmp_ne_u32_e32 vcc, v12, v4
	v_fma_f16 v6, v36, v14, -v6
	v_cndmask_b32_e64 v4, 0, 1, vcc
	v_add_u32_e32 v10, 0xfffffc10, v10
	v_cvt_f32_f16_e32 v6, v6
	v_or_b32_e32 v4, v13, v4
	v_lshl_or_b32 v12, v10, 12, v2
	v_cmp_gt_i32_e32 vcc, 1, v10
	v_cndmask_b32_e32 v4, v12, v4, vcc
	v_and_b32_e32 v12, 7, v4
	v_cmp_lt_i32_e32 vcc, 5, v12
	v_cmp_eq_u32_e64 s[0:1], 3, v12
	v_cvt_f64_f32_e32 v[12:13], v6
	v_lshrrev_b32_e32 v4, 2, v4
	s_or_b64 vcc, s[0:1], vcc
	v_addc_co_u32_e32 v4, vcc, 0, v4, vcc
	v_mul_f64 v[12:13], v[12:13], s[2:3]
	v_cmp_gt_i32_e32 vcc, 31, v10
	v_cndmask_b32_e32 v4, v0, v4, vcc
	v_cmp_ne_u32_e32 vcc, 0, v2
	v_cndmask_b32_e64 v2, 0, 1, vcc
	v_lshl_or_b32 v2, v2, 9, v0
	v_cmp_eq_u32_e32 vcc, s10, v10
	v_cndmask_b32_e32 v2, v4, v2, vcc
	v_lshrrev_b32_e32 v4, 16, v11
	v_and_or_b32 v2, v4, s11, v2
	v_and_or_b32 v4, v13, s6, v12
	v_cmp_ne_u32_e32 vcc, 0, v4
	v_cndmask_b32_e64 v4, 0, 1, vcc
	v_lshrrev_b32_e32 v6, 8, v13
	v_bfe_u32 v10, v13, 20, 11
	v_and_or_b32 v4, v6, s7, v4
	v_sub_u32_e32 v11, 0x3f1, v10
	v_or_b32_e32 v6, 0x1000, v4
	v_med3_i32 v11, v11, 0, 13
	v_lshrrev_b32_e32 v12, v11, v6
	v_lshlrev_b32_e32 v11, v11, v12
	v_cmp_ne_u32_e32 vcc, v11, v6
	v_cndmask_b32_e64 v6, 0, 1, vcc
	v_add_u32_e32 v10, 0xfffffc10, v10
	v_or_b32_e32 v6, v12, v6
	v_lshl_or_b32 v11, v10, 12, v4
	v_cmp_gt_i32_e32 vcc, 1, v10
	v_cndmask_b32_e32 v6, v11, v6, vcc
	v_and_b32_e32 v11, 7, v6
	v_lshrrev_b32_e32 v12, 16, v1
	v_cmp_lt_i32_e32 vcc, 5, v11
	v_cmp_eq_u32_e64 s[0:1], 3, v11
	v_mul_f16_sdwa v11, v35, v12 dst_sel:DWORD dst_unused:UNUSED_PAD src0_sel:WORD_1 src1_sel:DWORD
	v_fma_f16 v11, v35, v1, v11
	v_lshrrev_b32_e32 v6, 2, v6
	s_or_b64 vcc, s[0:1], vcc
	v_cvt_f32_f16_e32 v11, v11
	v_addc_co_u32_e32 v6, vcc, 0, v6, vcc
	v_cmp_gt_i32_e32 vcc, 31, v10
	v_cndmask_b32_e32 v6, v0, v6, vcc
	v_cmp_ne_u32_e32 vcc, 0, v4
	v_cndmask_b32_e64 v4, 0, 1, vcc
	v_cmp_eq_u32_e32 vcc, s10, v10
	v_cvt_f64_f32_e32 v[10:11], v11
	v_lshl_or_b32 v4, v4, 9, v0
	v_cndmask_b32_e32 v4, v6, v4, vcc
	v_lshrrev_b32_e32 v6, 16, v13
	v_mul_f64 v[10:11], v[10:11], s[2:3]
	v_and_or_b32 v4, v6, s11, v4
	v_and_b32_e32 v2, 0xffff, v2
	v_lshl_or_b32 v2, v4, 16, v2
	v_mov_b32_e32 v4, s4
	v_add_co_u32_e32 v8, vcc, s5, v8
	v_addc_co_u32_e32 v9, vcc, v9, v4, vcc
	global_store_dword v[8:9], v2, off
	v_and_or_b32 v2, v11, s6, v10
	v_cmp_ne_u32_e32 vcc, 0, v2
	v_cndmask_b32_e64 v2, 0, 1, vcc
	v_lshrrev_b32_e32 v4, 8, v11
	v_bfe_u32 v6, v11, 20, 11
	v_and_or_b32 v4, v4, s7, v2
	v_sub_u32_e32 v10, 0x3f1, v6
	v_or_b32_e32 v2, 0x1000, v4
	v_med3_i32 v10, v10, 0, 13
	v_lshrrev_b32_e32 v13, v10, v2
	v_lshlrev_b32_e32 v10, v10, v13
	v_mul_f16_sdwa v1, v35, v1 dst_sel:DWORD dst_unused:UNUSED_PAD src0_sel:WORD_1 src1_sel:DWORD
	v_cmp_ne_u32_e32 vcc, v10, v2
	v_fma_f16 v1, v35, v12, -v1
	v_cndmask_b32_e64 v2, 0, 1, vcc
	v_add_u32_e32 v6, 0xfffffc10, v6
	v_cvt_f32_f16_e32 v1, v1
	v_or_b32_e32 v2, v13, v2
	v_lshl_or_b32 v10, v6, 12, v4
	v_cmp_gt_i32_e32 vcc, 1, v6
	v_cndmask_b32_e32 v2, v10, v2, vcc
	v_and_b32_e32 v10, 7, v2
	v_cmp_lt_i32_e32 vcc, 5, v10
	v_cmp_eq_u32_e64 s[0:1], 3, v10
	v_lshrrev_b32_e32 v10, 2, v2
	v_cvt_f64_f32_e32 v[1:2], v1
	s_or_b64 vcc, s[0:1], vcc
	v_addc_co_u32_e32 v10, vcc, 0, v10, vcc
	v_mul_f64 v[1:2], v[1:2], s[2:3]
	v_cmp_gt_i32_e32 vcc, 31, v6
	v_cndmask_b32_e32 v10, v0, v10, vcc
	v_cmp_ne_u32_e32 vcc, 0, v4
	v_cndmask_b32_e64 v4, 0, 1, vcc
	v_lshl_or_b32 v4, v4, 9, v0
	v_cmp_eq_u32_e32 vcc, s10, v6
	v_cndmask_b32_e32 v4, v10, v4, vcc
	v_and_or_b32 v1, v2, s6, v1
	v_lshrrev_b32_e32 v6, 16, v11
	v_cmp_ne_u32_e32 vcc, 0, v1
	v_and_or_b32 v4, v6, s11, v4
	v_cndmask_b32_e64 v1, 0, 1, vcc
	v_lshrrev_b32_e32 v6, 8, v2
	v_bfe_u32 v10, v2, 20, 11
	v_and_or_b32 v1, v6, s7, v1
	v_sub_u32_e32 v11, 0x3f1, v10
	v_or_b32_e32 v6, 0x1000, v1
	v_med3_i32 v11, v11, 0, 13
	v_lshrrev_b32_e32 v12, v11, v6
	v_lshlrev_b32_e32 v11, v11, v12
	v_cmp_ne_u32_e32 vcc, v11, v6
	v_cndmask_b32_e64 v6, 0, 1, vcc
	v_add_u32_e32 v10, 0xfffffc10, v10
	v_or_b32_e32 v6, v12, v6
	v_lshl_or_b32 v11, v10, 12, v1
	v_cmp_gt_i32_e32 vcc, 1, v10
	v_cndmask_b32_e32 v6, v11, v6, vcc
	v_and_b32_e32 v11, 7, v6
	v_cmp_lt_i32_e32 vcc, 5, v11
	v_cmp_eq_u32_e64 s[0:1], 3, v11
	v_lshrrev_b32_e32 v11, 16, v3
	v_lshrrev_b32_e32 v6, 2, v6
	s_or_b64 vcc, s[0:1], vcc
	v_mul_f16_sdwa v12, v34, v11 dst_sel:DWORD dst_unused:UNUSED_PAD src0_sel:WORD_1 src1_sel:DWORD
	v_addc_co_u32_e32 v6, vcc, 0, v6, vcc
	v_fma_f16 v12, v34, v3, v12
	v_cmp_gt_i32_e32 vcc, 31, v10
	v_cvt_f32_f16_e32 v12, v12
	v_cndmask_b32_e32 v6, v0, v6, vcc
	v_cmp_ne_u32_e32 vcc, 0, v1
	v_cndmask_b32_e64 v1, 0, 1, vcc
	v_lshl_or_b32 v1, v1, 9, v0
	v_cmp_eq_u32_e32 vcc, s10, v10
	v_cndmask_b32_e32 v6, v6, v1, vcc
	v_lshrrev_b32_e32 v10, 16, v2
	v_cvt_f64_f32_e32 v[1:2], v12
	v_and_or_b32 v6, v10, s11, v6
	v_mov_b32_e32 v10, 0xfffff4c0
	v_mad_u64_u32 v[8:9], s[0:1], s8, v10, v[8:9]
	v_mul_f64 v[1:2], v[1:2], s[2:3]
	s_mul_i32 s0, s9, 0xfffff4c0
	v_and_b32_e32 v4, 0xffff, v4
	s_sub_i32 s0, s0, s8
	v_lshl_or_b32 v4, v6, 16, v4
	v_add_u32_e32 v9, s0, v9
	global_store_dword v[8:9], v4, off
	v_mul_f16_sdwa v3, v34, v3 dst_sel:DWORD dst_unused:UNUSED_PAD src0_sel:WORD_1 src1_sel:DWORD
	v_and_or_b32 v1, v2, s6, v1
	v_cmp_ne_u32_e32 vcc, 0, v1
	v_cndmask_b32_e64 v1, 0, 1, vcc
	v_lshrrev_b32_e32 v4, 8, v2
	v_bfe_u32 v6, v2, 20, 11
	v_and_or_b32 v1, v4, s7, v1
	v_sub_u32_e32 v10, 0x3f1, v6
	v_or_b32_e32 v4, 0x1000, v1
	v_med3_i32 v10, v10, 0, 13
	v_lshrrev_b32_e32 v12, v10, v4
	v_lshlrev_b32_e32 v10, v10, v12
	v_cmp_ne_u32_e32 vcc, v10, v4
	v_fma_f16 v3, v34, v11, -v3
	v_cndmask_b32_e64 v4, 0, 1, vcc
	v_add_u32_e32 v6, 0xfffffc10, v6
	v_cvt_f32_f16_e32 v3, v3
	v_or_b32_e32 v4, v12, v4
	v_lshl_or_b32 v10, v6, 12, v1
	v_cmp_gt_i32_e32 vcc, 1, v6
	v_cndmask_b32_e32 v4, v10, v4, vcc
	v_and_b32_e32 v10, 7, v4
	v_cmp_lt_i32_e32 vcc, 5, v10
	v_cmp_eq_u32_e64 s[0:1], 3, v10
	v_lshrrev_b32_e32 v10, 2, v4
	v_cvt_f64_f32_e32 v[3:4], v3
	s_or_b64 vcc, s[0:1], vcc
	v_addc_co_u32_e32 v10, vcc, 0, v10, vcc
	v_mul_f64 v[3:4], v[3:4], s[2:3]
	v_cmp_gt_i32_e32 vcc, 31, v6
	v_cndmask_b32_e32 v10, v0, v10, vcc
	v_cmp_ne_u32_e32 vcc, 0, v1
	v_cndmask_b32_e64 v1, 0, 1, vcc
	v_lshl_or_b32 v1, v1, 9, v0
	v_cmp_eq_u32_e32 vcc, s10, v6
	v_cndmask_b32_e32 v1, v10, v1, vcc
	v_lshrrev_b32_e32 v2, 16, v2
	v_and_or_b32 v6, v2, s11, v1
	v_and_or_b32 v1, v4, s6, v3
	v_cmp_ne_u32_e32 vcc, 0, v1
	v_cndmask_b32_e64 v1, 0, 1, vcc
	v_lshrrev_b32_e32 v2, 8, v4
	v_bfe_u32 v3, v4, 20, 11
	v_and_or_b32 v1, v2, s7, v1
	v_sub_u32_e32 v10, 0x3f1, v3
	v_or_b32_e32 v2, 0x1000, v1
	v_med3_i32 v10, v10, 0, 13
	v_lshrrev_b32_e32 v11, v10, v2
	v_lshlrev_b32_e32 v10, v10, v11
	v_cmp_ne_u32_e32 vcc, v10, v2
	v_cndmask_b32_e64 v2, 0, 1, vcc
	v_add_u32_e32 v3, 0xfffffc10, v3
	v_or_b32_e32 v2, v11, v2
	v_lshl_or_b32 v10, v3, 12, v1
	v_cmp_gt_i32_e32 vcc, 1, v3
	v_cndmask_b32_e32 v2, v10, v2, vcc
	v_and_b32_e32 v10, 7, v2
	v_cmp_lt_i32_e32 vcc, 5, v10
	v_cmp_eq_u32_e64 s[0:1], 3, v10
	v_lshrrev_b32_e32 v10, 16, v5
	v_lshrrev_b32_e32 v2, 2, v2
	s_or_b64 vcc, s[0:1], vcc
	v_mul_f16_sdwa v11, v33, v10 dst_sel:DWORD dst_unused:UNUSED_PAD src0_sel:WORD_1 src1_sel:DWORD
	v_addc_co_u32_e32 v2, vcc, 0, v2, vcc
	v_fma_f16 v11, v33, v5, v11
	v_cmp_gt_i32_e32 vcc, 31, v3
	v_cvt_f32_f16_e32 v11, v11
	v_cndmask_b32_e32 v2, v0, v2, vcc
	v_cmp_ne_u32_e32 vcc, 0, v1
	v_cndmask_b32_e64 v1, 0, 1, vcc
	v_lshl_or_b32 v1, v1, 9, v0
	v_cmp_eq_u32_e32 vcc, s10, v3
	v_cndmask_b32_e32 v3, v2, v1, vcc
	v_cvt_f64_f32_e32 v[1:2], v11
	v_lshrrev_b32_e32 v4, 16, v4
	v_and_or_b32 v3, v4, s11, v3
	v_and_b32_e32 v4, 0xffff, v6
	v_mul_f64 v[1:2], v[1:2], s[2:3]
	v_lshl_or_b32 v6, v3, 16, v4
	v_mov_b32_e32 v4, s4
	v_add_co_u32_e32 v3, vcc, s5, v8
	v_addc_co_u32_e32 v4, vcc, v9, v4, vcc
	global_store_dword v[3:4], v6, off
	v_and_or_b32 v1, v2, s6, v1
	v_cmp_ne_u32_e32 vcc, 0, v1
	v_cndmask_b32_e64 v1, 0, 1, vcc
	v_lshrrev_b32_e32 v6, 8, v2
	v_bfe_u32 v8, v2, 20, 11
	v_and_or_b32 v1, v6, s7, v1
	v_sub_u32_e32 v9, 0x3f1, v8
	v_or_b32_e32 v6, 0x1000, v1
	v_med3_i32 v9, v9, 0, 13
	v_lshrrev_b32_e32 v11, v9, v6
	v_lshlrev_b32_e32 v9, v9, v11
	v_mul_f16_sdwa v5, v33, v5 dst_sel:DWORD dst_unused:UNUSED_PAD src0_sel:WORD_1 src1_sel:DWORD
	v_cmp_ne_u32_e32 vcc, v9, v6
	v_fma_f16 v5, v33, v10, -v5
	v_cndmask_b32_e64 v6, 0, 1, vcc
	v_add_u32_e32 v8, 0xfffffc10, v8
	v_cvt_f32_f16_e32 v5, v5
	v_or_b32_e32 v6, v11, v6
	v_lshl_or_b32 v9, v8, 12, v1
	v_cmp_gt_i32_e32 vcc, 1, v8
	v_cndmask_b32_e32 v6, v9, v6, vcc
	v_and_b32_e32 v9, 7, v6
	v_cmp_lt_i32_e32 vcc, 5, v9
	v_cmp_eq_u32_e64 s[0:1], 3, v9
	v_lshrrev_b32_e32 v9, 2, v6
	v_cvt_f64_f32_e32 v[5:6], v5
	s_or_b64 vcc, s[0:1], vcc
	v_addc_co_u32_e32 v9, vcc, 0, v9, vcc
	v_mul_f64 v[5:6], v[5:6], s[2:3]
	v_cmp_gt_i32_e32 vcc, 31, v8
	v_cndmask_b32_e32 v9, v0, v9, vcc
	v_cmp_ne_u32_e32 vcc, 0, v1
	v_cndmask_b32_e64 v1, 0, 1, vcc
	v_lshl_or_b32 v1, v1, 9, v0
	v_cmp_eq_u32_e32 vcc, s10, v8
	v_cndmask_b32_e32 v1, v9, v1, vcc
	v_lshrrev_b32_e32 v2, 16, v2
	v_and_or_b32 v8, v2, s11, v1
	v_and_or_b32 v1, v6, s6, v5
	v_cmp_ne_u32_e32 vcc, 0, v1
	v_cndmask_b32_e64 v1, 0, 1, vcc
	v_lshrrev_b32_e32 v2, 8, v6
	v_bfe_u32 v5, v6, 20, 11
	v_and_or_b32 v1, v2, s7, v1
	v_sub_u32_e32 v9, 0x3f1, v5
	v_or_b32_e32 v2, 0x1000, v1
	v_med3_i32 v9, v9, 0, 13
	v_lshrrev_b32_e32 v10, v9, v2
	v_lshlrev_b32_e32 v9, v9, v10
	v_cmp_ne_u32_e32 vcc, v9, v2
	v_cndmask_b32_e64 v2, 0, 1, vcc
	v_add_u32_e32 v5, 0xfffffc10, v5
	v_or_b32_e32 v2, v10, v2
	v_lshl_or_b32 v9, v5, 12, v1
	v_cmp_gt_i32_e32 vcc, 1, v5
	v_cndmask_b32_e32 v2, v9, v2, vcc
	v_and_b32_e32 v9, 7, v2
	v_cmp_lt_i32_e32 vcc, 5, v9
	v_cmp_eq_u32_e64 s[0:1], 3, v9
	v_lshrrev_b32_e32 v9, 16, v7
	v_lshrrev_b32_e32 v2, 2, v2
	s_or_b64 vcc, s[0:1], vcc
	v_mul_f16_sdwa v10, v32, v9 dst_sel:DWORD dst_unused:UNUSED_PAD src0_sel:WORD_1 src1_sel:DWORD
	v_addc_co_u32_e32 v2, vcc, 0, v2, vcc
	v_fma_f16 v10, v32, v7, v10
	v_cmp_gt_i32_e32 vcc, 31, v5
	v_cvt_f32_f16_e32 v10, v10
	v_cndmask_b32_e32 v2, v0, v2, vcc
	v_cmp_ne_u32_e32 vcc, 0, v1
	v_cndmask_b32_e64 v1, 0, 1, vcc
	v_lshl_or_b32 v1, v1, 9, v0
	v_cmp_eq_u32_e32 vcc, s10, v5
	v_cndmask_b32_e32 v5, v2, v1, vcc
	v_cvt_f64_f32_e32 v[1:2], v10
	v_lshrrev_b32_e32 v6, 16, v6
	v_and_or_b32 v5, v6, s11, v5
	v_and_b32_e32 v6, 0xffff, v8
	v_mul_f64 v[1:2], v[1:2], s[2:3]
	v_lshl_or_b32 v5, v5, 16, v6
	v_mov_b32_e32 v6, s4
	v_add_co_u32_e32 v3, vcc, s5, v3
	v_addc_co_u32_e32 v4, vcc, v4, v6, vcc
	global_store_dword v[3:4], v5, off
	v_and_or_b32 v1, v2, s6, v1
	v_cmp_ne_u32_e32 vcc, 0, v1
	v_cndmask_b32_e64 v1, 0, 1, vcc
	v_lshrrev_b32_e32 v5, 8, v2
	v_bfe_u32 v6, v2, 20, 11
	v_and_or_b32 v1, v5, s7, v1
	v_sub_u32_e32 v8, 0x3f1, v6
	v_or_b32_e32 v5, 0x1000, v1
	v_med3_i32 v8, v8, 0, 13
	v_lshrrev_b32_e32 v10, v8, v5
	v_lshlrev_b32_e32 v8, v8, v10
	v_mul_f16_sdwa v7, v32, v7 dst_sel:DWORD dst_unused:UNUSED_PAD src0_sel:WORD_1 src1_sel:DWORD
	v_cmp_ne_u32_e32 vcc, v8, v5
	v_fma_f16 v7, v32, v9, -v7
	v_cndmask_b32_e64 v5, 0, 1, vcc
	v_add_u32_e32 v8, 0xfffffc10, v6
	v_cvt_f32_f16_e32 v7, v7
	v_or_b32_e32 v5, v10, v5
	v_lshl_or_b32 v6, v8, 12, v1
	v_cmp_gt_i32_e32 vcc, 1, v8
	v_cndmask_b32_e32 v5, v6, v5, vcc
	v_and_b32_e32 v6, 7, v5
	v_cmp_lt_i32_e32 vcc, 5, v6
	v_cmp_eq_u32_e64 s[0:1], 3, v6
	v_lshrrev_b32_e32 v9, 2, v5
	v_cvt_f64_f32_e32 v[5:6], v7
	s_or_b64 vcc, s[0:1], vcc
	v_addc_co_u32_e32 v7, vcc, 0, v9, vcc
	v_mul_f64 v[5:6], v[5:6], s[2:3]
	v_cmp_gt_i32_e32 vcc, 31, v8
	v_cndmask_b32_e32 v7, v0, v7, vcc
	v_cmp_ne_u32_e32 vcc, 0, v1
	v_cndmask_b32_e64 v1, 0, 1, vcc
	v_lshl_or_b32 v1, v1, 9, v0
	v_cmp_eq_u32_e32 vcc, s10, v8
	v_cndmask_b32_e32 v1, v7, v1, vcc
	v_lshrrev_b32_e32 v2, 16, v2
	v_and_or_b32 v1, v2, s11, v1
	v_and_or_b32 v2, v6, s6, v5
	v_cmp_ne_u32_e32 vcc, 0, v2
	v_cndmask_b32_e64 v2, 0, 1, vcc
	v_lshrrev_b32_e32 v5, 8, v6
	v_bfe_u32 v7, v6, 20, 11
	v_and_or_b32 v2, v5, s7, v2
	v_sub_u32_e32 v8, 0x3f1, v7
	v_or_b32_e32 v5, 0x1000, v2
	v_med3_i32 v8, v8, 0, 13
	v_lshrrev_b32_e32 v9, v8, v5
	v_lshlrev_b32_e32 v8, v8, v9
	v_cmp_ne_u32_e32 vcc, v8, v5
	v_cndmask_b32_e64 v5, 0, 1, vcc
	v_add_u32_e32 v7, 0xfffffc10, v7
	v_or_b32_e32 v5, v9, v5
	v_lshl_or_b32 v8, v7, 12, v2
	v_cmp_gt_i32_e32 vcc, 1, v7
	v_cndmask_b32_e32 v5, v8, v5, vcc
	v_and_b32_e32 v8, 7, v5
	v_cmp_lt_i32_e32 vcc, 5, v8
	v_cmp_eq_u32_e64 s[0:1], 3, v8
	v_lshrrev_b32_e32 v5, 2, v5
	s_or_b64 vcc, s[0:1], vcc
	v_addc_co_u32_e32 v5, vcc, 0, v5, vcc
	v_cmp_gt_i32_e32 vcc, 31, v7
	v_cndmask_b32_e32 v5, v0, v5, vcc
	v_cmp_ne_u32_e32 vcc, 0, v2
	v_cndmask_b32_e64 v2, 0, 1, vcc
	v_lshl_or_b32 v0, v2, 9, v0
	v_cmp_eq_u32_e32 vcc, s10, v7
	v_cndmask_b32_e32 v0, v5, v0, vcc
	v_lshrrev_b32_e32 v2, 16, v6
	v_and_or_b32 v0, v2, s11, v0
	v_and_b32_e32 v1, 0xffff, v1
	v_lshl_or_b32 v2, v0, 16, v1
	v_mov_b32_e32 v1, s4
	v_add_co_u32_e32 v0, vcc, s5, v3
	v_addc_co_u32_e32 v1, vcc, v4, v1, vcc
	global_store_dword v[0:1], v2, off
.LBB0_18:
	s_endpgm
	.section	.rodata,"a",@progbits
	.p2align	6, 0x0
	.amdhsa_kernel bluestein_single_fwd_len1152_dim1_half_op_CI_CI
		.amdhsa_group_segment_fixed_size 4608
		.amdhsa_private_segment_fixed_size 0
		.amdhsa_kernarg_size 104
		.amdhsa_user_sgpr_count 6
		.amdhsa_user_sgpr_private_segment_buffer 1
		.amdhsa_user_sgpr_dispatch_ptr 0
		.amdhsa_user_sgpr_queue_ptr 0
		.amdhsa_user_sgpr_kernarg_segment_ptr 1
		.amdhsa_user_sgpr_dispatch_id 0
		.amdhsa_user_sgpr_flat_scratch_init 0
		.amdhsa_user_sgpr_private_segment_size 0
		.amdhsa_uses_dynamic_stack 0
		.amdhsa_system_sgpr_private_segment_wavefront_offset 0
		.amdhsa_system_sgpr_workgroup_id_x 1
		.amdhsa_system_sgpr_workgroup_id_y 0
		.amdhsa_system_sgpr_workgroup_id_z 0
		.amdhsa_system_sgpr_workgroup_info 0
		.amdhsa_system_vgpr_workitem_id 0
		.amdhsa_next_free_vgpr 77
		.amdhsa_next_free_sgpr 20
		.amdhsa_reserve_vcc 1
		.amdhsa_reserve_flat_scratch 0
		.amdhsa_float_round_mode_32 0
		.amdhsa_float_round_mode_16_64 0
		.amdhsa_float_denorm_mode_32 3
		.amdhsa_float_denorm_mode_16_64 3
		.amdhsa_dx10_clamp 1
		.amdhsa_ieee_mode 1
		.amdhsa_fp16_overflow 0
		.amdhsa_exception_fp_ieee_invalid_op 0
		.amdhsa_exception_fp_denorm_src 0
		.amdhsa_exception_fp_ieee_div_zero 0
		.amdhsa_exception_fp_ieee_overflow 0
		.amdhsa_exception_fp_ieee_underflow 0
		.amdhsa_exception_fp_ieee_inexact 0
		.amdhsa_exception_int_div_zero 0
	.end_amdhsa_kernel
	.text
.Lfunc_end0:
	.size	bluestein_single_fwd_len1152_dim1_half_op_CI_CI, .Lfunc_end0-bluestein_single_fwd_len1152_dim1_half_op_CI_CI
                                        ; -- End function
	.section	.AMDGPU.csdata,"",@progbits
; Kernel info:
; codeLenInByte = 12244
; NumSgprs: 24
; NumVgprs: 77
; ScratchSize: 0
; MemoryBound: 0
; FloatMode: 240
; IeeeMode: 1
; LDSByteSize: 4608 bytes/workgroup (compile time only)
; SGPRBlocks: 2
; VGPRBlocks: 19
; NumSGPRsForWavesPerEU: 24
; NumVGPRsForWavesPerEU: 77
; Occupancy: 3
; WaveLimiterHint : 1
; COMPUTE_PGM_RSRC2:SCRATCH_EN: 0
; COMPUTE_PGM_RSRC2:USER_SGPR: 6
; COMPUTE_PGM_RSRC2:TRAP_HANDLER: 0
; COMPUTE_PGM_RSRC2:TGID_X_EN: 1
; COMPUTE_PGM_RSRC2:TGID_Y_EN: 0
; COMPUTE_PGM_RSRC2:TGID_Z_EN: 0
; COMPUTE_PGM_RSRC2:TIDIG_COMP_CNT: 0
	.type	__hip_cuid_f62e16c80c7007a1,@object ; @__hip_cuid_f62e16c80c7007a1
	.section	.bss,"aw",@nobits
	.globl	__hip_cuid_f62e16c80c7007a1
__hip_cuid_f62e16c80c7007a1:
	.byte	0                               ; 0x0
	.size	__hip_cuid_f62e16c80c7007a1, 1

	.ident	"AMD clang version 19.0.0git (https://github.com/RadeonOpenCompute/llvm-project roc-6.4.0 25133 c7fe45cf4b819c5991fe208aaa96edf142730f1d)"
	.section	".note.GNU-stack","",@progbits
	.addrsig
	.addrsig_sym __hip_cuid_f62e16c80c7007a1
	.amdgpu_metadata
---
amdhsa.kernels:
  - .args:
      - .actual_access:  read_only
        .address_space:  global
        .offset:         0
        .size:           8
        .value_kind:     global_buffer
      - .actual_access:  read_only
        .address_space:  global
        .offset:         8
        .size:           8
        .value_kind:     global_buffer
      - .actual_access:  read_only
        .address_space:  global
        .offset:         16
        .size:           8
        .value_kind:     global_buffer
      - .actual_access:  read_only
        .address_space:  global
        .offset:         24
        .size:           8
        .value_kind:     global_buffer
      - .actual_access:  read_only
        .address_space:  global
        .offset:         32
        .size:           8
        .value_kind:     global_buffer
      - .offset:         40
        .size:           8
        .value_kind:     by_value
      - .address_space:  global
        .offset:         48
        .size:           8
        .value_kind:     global_buffer
      - .address_space:  global
        .offset:         56
        .size:           8
        .value_kind:     global_buffer
      - .address_space:  global
        .offset:         64
        .size:           8
        .value_kind:     global_buffer
      - .address_space:  global
        .offset:         72
        .size:           8
        .value_kind:     global_buffer
      - .offset:         80
        .size:           4
        .value_kind:     by_value
      - .address_space:  global
        .offset:         88
        .size:           8
        .value_kind:     global_buffer
      - .address_space:  global
        .offset:         96
        .size:           8
        .value_kind:     global_buffer
    .group_segment_fixed_size: 4608
    .kernarg_segment_align: 8
    .kernarg_segment_size: 104
    .language:       OpenCL C
    .language_version:
      - 2
      - 0
    .max_flat_workgroup_size: 144
    .name:           bluestein_single_fwd_len1152_dim1_half_op_CI_CI
    .private_segment_fixed_size: 0
    .sgpr_count:     24
    .sgpr_spill_count: 0
    .symbol:         bluestein_single_fwd_len1152_dim1_half_op_CI_CI.kd
    .uniform_work_group_size: 1
    .uses_dynamic_stack: false
    .vgpr_count:     77
    .vgpr_spill_count: 0
    .wavefront_size: 64
amdhsa.target:   amdgcn-amd-amdhsa--gfx906
amdhsa.version:
  - 1
  - 2
...

	.end_amdgpu_metadata
